;; amdgpu-corpus repo=ROCm/rocFFT kind=compiled arch=gfx1030 opt=O3
	.text
	.amdgcn_target "amdgcn-amd-amdhsa--gfx1030"
	.amdhsa_code_object_version 6
	.protected	fft_rtc_fwd_len945_factors_3_3_3_5_7_wgs_63_tpt_63_halfLds_sp_ip_CI_sbrr_dirReg ; -- Begin function fft_rtc_fwd_len945_factors_3_3_3_5_7_wgs_63_tpt_63_halfLds_sp_ip_CI_sbrr_dirReg
	.globl	fft_rtc_fwd_len945_factors_3_3_3_5_7_wgs_63_tpt_63_halfLds_sp_ip_CI_sbrr_dirReg
	.p2align	8
	.type	fft_rtc_fwd_len945_factors_3_3_3_5_7_wgs_63_tpt_63_halfLds_sp_ip_CI_sbrr_dirReg,@function
fft_rtc_fwd_len945_factors_3_3_3_5_7_wgs_63_tpt_63_halfLds_sp_ip_CI_sbrr_dirReg: ; @fft_rtc_fwd_len945_factors_3_3_3_5_7_wgs_63_tpt_63_halfLds_sp_ip_CI_sbrr_dirReg
; %bb.0:
	s_clause 0x2
	s_load_dwordx2 s[14:15], s[4:5], 0x18
	s_load_dwordx4 s[8:11], s[4:5], 0x0
	s_load_dwordx2 s[12:13], s[4:5], 0x50
	v_mul_u32_u24_e32 v1, 0x411, v0
	v_mov_b32_e32 v3, 0
	v_add_nc_u32_sdwa v5, s6, v1 dst_sel:DWORD dst_unused:UNUSED_PAD src0_sel:DWORD src1_sel:WORD_1
	v_mov_b32_e32 v1, 0
	v_mov_b32_e32 v6, v3
	v_mov_b32_e32 v2, 0
	s_waitcnt lgkmcnt(0)
	s_load_dwordx2 s[2:3], s[14:15], 0x0
	v_cmp_lt_u64_e64 s0, s[10:11], 2
	s_and_b32 vcc_lo, exec_lo, s0
	s_cbranch_vccnz .LBB0_8
; %bb.1:
	s_load_dwordx2 s[0:1], s[4:5], 0x10
	v_mov_b32_e32 v1, 0
	s_add_u32 s6, s14, 8
	v_mov_b32_e32 v2, 0
	s_addc_u32 s7, s15, 0
	s_mov_b64 s[18:19], 1
	s_waitcnt lgkmcnt(0)
	s_add_u32 s16, s0, 8
	s_addc_u32 s17, s1, 0
.LBB0_2:                                ; =>This Inner Loop Header: Depth=1
	s_load_dwordx2 s[20:21], s[16:17], 0x0
                                        ; implicit-def: $vgpr7_vgpr8
	s_mov_b32 s0, exec_lo
	s_waitcnt lgkmcnt(0)
	v_or_b32_e32 v4, s21, v6
	v_cmpx_ne_u64_e32 0, v[3:4]
	s_xor_b32 s1, exec_lo, s0
	s_cbranch_execz .LBB0_4
; %bb.3:                                ;   in Loop: Header=BB0_2 Depth=1
	v_cvt_f32_u32_e32 v4, s20
	v_cvt_f32_u32_e32 v7, s21
	s_sub_u32 s0, 0, s20
	s_subb_u32 s22, 0, s21
	v_fmac_f32_e32 v4, 0x4f800000, v7
	v_rcp_f32_e32 v4, v4
	v_mul_f32_e32 v4, 0x5f7ffffc, v4
	v_mul_f32_e32 v7, 0x2f800000, v4
	v_trunc_f32_e32 v7, v7
	v_fmac_f32_e32 v4, 0xcf800000, v7
	v_cvt_u32_f32_e32 v7, v7
	v_cvt_u32_f32_e32 v4, v4
	v_mul_lo_u32 v8, s0, v7
	v_mul_hi_u32 v9, s0, v4
	v_mul_lo_u32 v10, s22, v4
	v_add_nc_u32_e32 v8, v9, v8
	v_mul_lo_u32 v9, s0, v4
	v_add_nc_u32_e32 v8, v8, v10
	v_mul_hi_u32 v10, v4, v9
	v_mul_lo_u32 v11, v4, v8
	v_mul_hi_u32 v12, v4, v8
	v_mul_hi_u32 v13, v7, v9
	v_mul_lo_u32 v9, v7, v9
	v_mul_hi_u32 v14, v7, v8
	v_mul_lo_u32 v8, v7, v8
	v_add_co_u32 v10, vcc_lo, v10, v11
	v_add_co_ci_u32_e32 v11, vcc_lo, 0, v12, vcc_lo
	v_add_co_u32 v9, vcc_lo, v10, v9
	v_add_co_ci_u32_e32 v9, vcc_lo, v11, v13, vcc_lo
	v_add_co_ci_u32_e32 v10, vcc_lo, 0, v14, vcc_lo
	v_add_co_u32 v8, vcc_lo, v9, v8
	v_add_co_ci_u32_e32 v9, vcc_lo, 0, v10, vcc_lo
	v_add_co_u32 v4, vcc_lo, v4, v8
	v_add_co_ci_u32_e32 v7, vcc_lo, v7, v9, vcc_lo
	v_mul_hi_u32 v8, s0, v4
	v_mul_lo_u32 v10, s22, v4
	v_mul_lo_u32 v9, s0, v7
	v_add_nc_u32_e32 v8, v8, v9
	v_mul_lo_u32 v9, s0, v4
	v_add_nc_u32_e32 v8, v8, v10
	v_mul_hi_u32 v10, v4, v9
	v_mul_lo_u32 v11, v4, v8
	v_mul_hi_u32 v12, v4, v8
	v_mul_hi_u32 v13, v7, v9
	v_mul_lo_u32 v9, v7, v9
	v_mul_hi_u32 v14, v7, v8
	v_mul_lo_u32 v8, v7, v8
	v_add_co_u32 v10, vcc_lo, v10, v11
	v_add_co_ci_u32_e32 v11, vcc_lo, 0, v12, vcc_lo
	v_add_co_u32 v9, vcc_lo, v10, v9
	v_add_co_ci_u32_e32 v9, vcc_lo, v11, v13, vcc_lo
	v_add_co_ci_u32_e32 v10, vcc_lo, 0, v14, vcc_lo
	v_add_co_u32 v8, vcc_lo, v9, v8
	v_add_co_ci_u32_e32 v9, vcc_lo, 0, v10, vcc_lo
	v_add_co_u32 v4, vcc_lo, v4, v8
	v_add_co_ci_u32_e32 v11, vcc_lo, v7, v9, vcc_lo
	v_mul_hi_u32 v13, v5, v4
	v_mad_u64_u32 v[9:10], null, v6, v4, 0
	v_mad_u64_u32 v[7:8], null, v5, v11, 0
	;; [unrolled: 1-line block ×3, first 2 shown]
	v_add_co_u32 v4, vcc_lo, v13, v7
	v_add_co_ci_u32_e32 v7, vcc_lo, 0, v8, vcc_lo
	v_add_co_u32 v4, vcc_lo, v4, v9
	v_add_co_ci_u32_e32 v4, vcc_lo, v7, v10, vcc_lo
	v_add_co_ci_u32_e32 v7, vcc_lo, 0, v12, vcc_lo
	v_add_co_u32 v4, vcc_lo, v4, v11
	v_add_co_ci_u32_e32 v9, vcc_lo, 0, v7, vcc_lo
	v_mul_lo_u32 v10, s21, v4
	v_mad_u64_u32 v[7:8], null, s20, v4, 0
	v_mul_lo_u32 v11, s20, v9
	v_sub_co_u32 v7, vcc_lo, v5, v7
	v_add3_u32 v8, v8, v11, v10
	v_sub_nc_u32_e32 v10, v6, v8
	v_subrev_co_ci_u32_e64 v10, s0, s21, v10, vcc_lo
	v_add_co_u32 v11, s0, v4, 2
	v_add_co_ci_u32_e64 v12, s0, 0, v9, s0
	v_sub_co_u32 v13, s0, v7, s20
	v_sub_co_ci_u32_e32 v8, vcc_lo, v6, v8, vcc_lo
	v_subrev_co_ci_u32_e64 v10, s0, 0, v10, s0
	v_cmp_le_u32_e32 vcc_lo, s20, v13
	v_cmp_eq_u32_e64 s0, s21, v8
	v_cndmask_b32_e64 v13, 0, -1, vcc_lo
	v_cmp_le_u32_e32 vcc_lo, s21, v10
	v_cndmask_b32_e64 v14, 0, -1, vcc_lo
	v_cmp_le_u32_e32 vcc_lo, s20, v7
	;; [unrolled: 2-line block ×3, first 2 shown]
	v_cndmask_b32_e64 v15, 0, -1, vcc_lo
	v_cmp_eq_u32_e32 vcc_lo, s21, v10
	v_cndmask_b32_e64 v7, v15, v7, s0
	v_cndmask_b32_e32 v10, v14, v13, vcc_lo
	v_add_co_u32 v13, vcc_lo, v4, 1
	v_add_co_ci_u32_e32 v14, vcc_lo, 0, v9, vcc_lo
	v_cmp_ne_u32_e32 vcc_lo, 0, v10
	v_cndmask_b32_e32 v8, v14, v12, vcc_lo
	v_cndmask_b32_e32 v10, v13, v11, vcc_lo
	v_cmp_ne_u32_e32 vcc_lo, 0, v7
	v_cndmask_b32_e32 v8, v9, v8, vcc_lo
	v_cndmask_b32_e32 v7, v4, v10, vcc_lo
.LBB0_4:                                ;   in Loop: Header=BB0_2 Depth=1
	s_andn2_saveexec_b32 s0, s1
	s_cbranch_execz .LBB0_6
; %bb.5:                                ;   in Loop: Header=BB0_2 Depth=1
	v_cvt_f32_u32_e32 v4, s20
	s_sub_i32 s1, 0, s20
	v_rcp_iflag_f32_e32 v4, v4
	v_mul_f32_e32 v4, 0x4f7ffffe, v4
	v_cvt_u32_f32_e32 v4, v4
	v_mul_lo_u32 v7, s1, v4
	v_mul_hi_u32 v7, v4, v7
	v_add_nc_u32_e32 v4, v4, v7
	v_mul_hi_u32 v4, v5, v4
	v_mul_lo_u32 v7, v4, s20
	v_add_nc_u32_e32 v8, 1, v4
	v_sub_nc_u32_e32 v7, v5, v7
	v_subrev_nc_u32_e32 v9, s20, v7
	v_cmp_le_u32_e32 vcc_lo, s20, v7
	v_cndmask_b32_e32 v7, v7, v9, vcc_lo
	v_cndmask_b32_e32 v4, v4, v8, vcc_lo
	v_cmp_le_u32_e32 vcc_lo, s20, v7
	v_add_nc_u32_e32 v8, 1, v4
	v_cndmask_b32_e32 v7, v4, v8, vcc_lo
	v_mov_b32_e32 v8, v3
.LBB0_6:                                ;   in Loop: Header=BB0_2 Depth=1
	s_or_b32 exec_lo, exec_lo, s0
	s_load_dwordx2 s[0:1], s[6:7], 0x0
	v_mul_lo_u32 v4, v8, s20
	v_mul_lo_u32 v11, v7, s21
	v_mad_u64_u32 v[9:10], null, v7, s20, 0
	s_add_u32 s18, s18, 1
	s_addc_u32 s19, s19, 0
	s_add_u32 s6, s6, 8
	s_addc_u32 s7, s7, 0
	;; [unrolled: 2-line block ×3, first 2 shown]
	v_add3_u32 v4, v10, v11, v4
	v_sub_co_u32 v5, vcc_lo, v5, v9
	v_sub_co_ci_u32_e32 v4, vcc_lo, v6, v4, vcc_lo
	s_waitcnt lgkmcnt(0)
	v_mul_lo_u32 v6, s1, v5
	v_mul_lo_u32 v4, s0, v4
	v_mad_u64_u32 v[1:2], null, s0, v5, v[1:2]
	v_cmp_ge_u64_e64 s0, s[18:19], s[10:11]
	s_and_b32 vcc_lo, exec_lo, s0
	v_add3_u32 v2, v6, v2, v4
	s_cbranch_vccnz .LBB0_9
; %bb.7:                                ;   in Loop: Header=BB0_2 Depth=1
	v_mov_b32_e32 v5, v7
	v_mov_b32_e32 v6, v8
	s_branch .LBB0_2
.LBB0_8:
	v_mov_b32_e32 v8, v6
	v_mov_b32_e32 v7, v5
.LBB0_9:
	s_lshl_b64 s[0:1], s[10:11], 3
	v_mul_hi_u32 v3, 0x4104105, v0
	s_add_u32 s0, s14, s0
	s_addc_u32 s1, s15, s1
	s_load_dwordx2 s[4:5], s[4:5], 0x20
	s_load_dwordx2 s[0:1], s[0:1], 0x0
                                        ; implicit-def: $vgpr15
                                        ; implicit-def: $vgpr66
	v_mul_u32_u24_e32 v3, 63, v3
	v_sub_nc_u32_e32 v65, v0, v3
	v_add_nc_u32_e32 v56, 63, v65
	v_add_nc_u32_e32 v35, 0xbd, v65
	;; [unrolled: 1-line block ×3, first 2 shown]
	s_waitcnt lgkmcnt(0)
	v_cmp_gt_u64_e32 vcc_lo, s[4:5], v[7:8]
	v_mul_lo_u32 v3, s0, v8
	v_mul_lo_u32 v4, s1, v7
	v_mad_u64_u32 v[0:1], null, s0, v7, v[1:2]
	v_cmp_le_u64_e64 s0, s[4:5], v[7:8]
	v_add3_u32 v1, v4, v1, v3
	s_and_saveexec_b32 s1, s0
	s_xor_b32 s0, exec_lo, s1
; %bb.10:
	v_add_nc_u32_e32 v15, 63, v65
	v_add_nc_u32_e32 v66, 0x7e, v65
	;; [unrolled: 1-line block ×4, first 2 shown]
; %bb.11:
	s_or_saveexec_b32 s1, s0
	v_lshlrev_b64 v[16:17], 3, v[0:1]
                                        ; implicit-def: $vgpr10
                                        ; implicit-def: $vgpr3
                                        ; implicit-def: $vgpr1
                                        ; implicit-def: $vgpr7
                                        ; implicit-def: $vgpr5
                                        ; implicit-def: $vgpr33
                                        ; implicit-def: $vgpr19
                                        ; implicit-def: $vgpr29
                                        ; implicit-def: $vgpr25
                                        ; implicit-def: $vgpr27
                                        ; implicit-def: $vgpr21
                                        ; implicit-def: $vgpr31
                                        ; implicit-def: $vgpr14
                                        ; implicit-def: $vgpr23
                                        ; implicit-def: $vgpr12
	s_xor_b32 exec_lo, exec_lo, s1
	s_cbranch_execz .LBB0_13
; %bb.12:
	v_add_nc_u32_e32 v10, 0x13b, v65
	v_mad_u64_u32 v[0:1], null, s2, v65, 0
	v_mad_u64_u32 v[4:5], null, s2, v56, 0
	;; [unrolled: 1-line block ×3, first 2 shown]
	v_add_nc_u32_e32 v11, 0x276, v65
	v_add_nc_u32_e32 v12, 0x17a, v65
	v_add_co_u32 v15, s0, s12, v16
	v_add_co_ci_u32_e64 v33, s0, s13, v17, s0
	v_mad_u64_u32 v[8:9], null, s3, v65, v[1:2]
	v_mad_u64_u32 v[6:7], null, s2, v11, 0
	;; [unrolled: 1-line block ×4, first 2 shown]
	v_mov_b32_e32 v1, v8
	v_add_nc_u32_e32 v66, 0x7e, v65
	v_add_nc_u32_e32 v24, 0x1b9, v65
	;; [unrolled: 1-line block ×3, first 2 shown]
	v_mov_b32_e32 v3, v9
	v_mad_u64_u32 v[8:9], null, s3, v56, v[5:6]
	v_lshlrev_b64 v[0:1], 3, v[0:1]
	v_mad_u64_u32 v[20:21], null, s2, v66, 0
	v_lshlrev_b64 v[2:3], 3, v[2:3]
	v_mad_u64_u32 v[22:23], null, s2, v24, 0
	v_mad_u64_u32 v[9:10], null, s3, v11, v[7:8]
	v_add_nc_u32_e32 v10, 0x2b5, v65
	v_mov_b32_e32 v5, v8
	v_mov_b32_e32 v8, v14
	v_add_co_u32 v0, s0, v15, v0
	v_mad_u64_u32 v[18:19], null, s2, v10, 0
	v_mov_b32_e32 v7, v9
	v_add_co_ci_u32_e64 v1, s0, v33, v1, s0
	v_add_co_u32 v2, s0, v15, v2
	v_lshlrev_b64 v[6:7], 3, v[6:7]
	v_lshlrev_b64 v[4:5], 3, v[4:5]
	v_mad_u64_u32 v[8:9], null, s3, v12, v[8:9]
	v_add_co_ci_u32_e64 v3, s0, v33, v3, s0
	v_add_co_u32 v6, s0, v15, v6
	v_mov_b32_e32 v9, v19
	v_add_co_ci_u32_e64 v7, s0, v33, v7, s0
	v_add_co_u32 v4, s0, v15, v4
	v_add_co_ci_u32_e64 v5, s0, v33, v5, s0
	v_mov_b32_e32 v14, v8
	v_mad_u64_u32 v[8:9], null, s3, v10, v[9:10]
	s_clause 0x3
	global_load_dwordx2 v[9:10], v[0:1], off
	global_load_dwordx2 v[2:3], v[2:3], off
	;; [unrolled: 1-line block ×4, first 2 shown]
	v_mov_b32_e32 v6, v21
	v_mov_b32_e32 v7, v23
	v_lshlrev_b64 v[4:5], 3, v[13:14]
	v_add_nc_u32_e32 v32, 0x1f8, v65
	v_add_nc_u32_e32 v41, 0x237, v65
	v_mov_b32_e32 v19, v8
	v_mad_u64_u32 v[13:14], null, s3, v66, v[6:7]
	v_mad_u64_u32 v[6:7], null, s3, v24, v[7:8]
	v_lshlrev_b64 v[7:8], 3, v[18:19]
	v_mad_u64_u32 v[24:25], null, s2, v26, 0
	v_add_co_u32 v4, s0, v15, v4
	v_mov_b32_e32 v21, v13
	v_add_co_ci_u32_e64 v5, s0, v33, v5, s0
	v_add_co_u32 v13, s0, v15, v7
	v_add_co_ci_u32_e64 v14, s0, v33, v8, s0
	v_lshlrev_b64 v[7:8], 3, v[20:21]
	v_mov_b32_e32 v23, v6
	v_mov_b32_e32 v6, v25
	v_lshlrev_b64 v[18:19], 3, v[22:23]
	v_mad_u64_u32 v[20:21], null, s3, v26, v[6:7]
	v_mad_u64_u32 v[26:27], null, s2, v35, 0
	v_add_co_u32 v28, s0, v15, v7
	v_add_co_ci_u32_e64 v29, s0, v33, v8, s0
	v_mov_b32_e32 v25, v20
	v_mad_u64_u32 v[20:21], null, s2, v32, 0
	v_mov_b32_e32 v6, v27
	v_add_co_u32 v18, s0, v15, v18
	v_add_co_ci_u32_e64 v19, s0, v33, v19, s0
	v_mad_u64_u32 v[30:31], null, s3, v35, v[6:7]
	v_add_nc_u32_e32 v31, 0x333, v65
	v_mov_b32_e32 v8, v21
	s_clause 0x3
	global_load_dwordx2 v[6:7], v[4:5], off
	global_load_dwordx2 v[22:23], v[13:14], off
	;; [unrolled: 1-line block ×4, first 2 shown]
	v_lshlrev_b64 v[18:19], 3, v[24:25]
	v_mad_u64_u32 v[24:25], null, s2, v31, 0
	v_mov_b32_e32 v27, v30
	v_add_co_u32 v18, s0, v15, v18
	v_add_co_ci_u32_e64 v19, s0, v33, v19, s0
	s_waitcnt vmcnt(7)
	v_mad_u64_u32 v[28:29], null, s3, v32, v[8:9]
	v_mad_u64_u32 v[29:30], null, s2, v34, 0
	v_mov_b32_e32 v8, v25
	v_lshlrev_b64 v[25:26], 3, v[26:27]
	v_mov_b32_e32 v21, v28
	v_mad_u64_u32 v[27:28], null, s3, v31, v[8:9]
	v_mov_b32_e32 v8, v30
	v_add_nc_u32_e32 v28, 0x372, v65
	v_mad_u64_u32 v[31:32], null, s2, v41, 0
	v_add_co_u32 v39, s0, v15, v25
	v_mad_u64_u32 v[36:37], null, s3, v34, v[8:9]
	v_mad_u64_u32 v[37:38], null, s2, v28, 0
	v_mov_b32_e32 v8, v32
	v_add_co_ci_u32_e64 v40, s0, v33, v26, s0
	v_mov_b32_e32 v25, v27
	v_lshlrev_b64 v[20:21], 3, v[20:21]
	v_mad_u64_u32 v[26:27], null, s3, v41, v[8:9]
	v_mov_b32_e32 v8, v38
	v_mov_b32_e32 v30, v36
	v_lshlrev_b64 v[24:25], 3, v[24:25]
	v_add_co_u32 v20, s0, v15, v20
	v_mad_u64_u32 v[27:28], null, s3, v28, v[8:9]
	v_lshlrev_b64 v[28:29], 3, v[29:30]
	v_mov_b32_e32 v32, v26
	v_add_co_ci_u32_e64 v21, s0, v33, v21, s0
	v_add_co_u32 v24, s0, v15, v24
	v_mov_b32_e32 v38, v27
	v_add_co_ci_u32_e64 v25, s0, v33, v25, s0
	v_lshlrev_b64 v[30:31], 3, v[31:32]
	v_add_co_u32 v26, s0, v15, v28
	v_add_co_ci_u32_e64 v27, s0, v33, v29, s0
	v_lshlrev_b64 v[28:29], 3, v[37:38]
	v_add_co_u32 v36, s0, v15, v30
	v_add_co_ci_u32_e64 v37, s0, v33, v31, s0
	v_add_co_u32 v41, s0, v15, v28
	v_add_co_ci_u32_e64 v42, s0, v33, v29, s0
	s_clause 0x6
	global_load_dwordx2 v[32:33], v[18:19], off
	global_load_dwordx2 v[18:19], v[39:40], off
	;; [unrolled: 1-line block ×7, first 2 shown]
	v_mov_b32_e32 v15, v56
.LBB0_13:
	s_or_b32 exec_lo, exec_lo, s1
	s_waitcnt vmcnt(12)
	v_add_f32_e32 v38, v3, v1
	v_sub_f32_e32 v37, v3, v1
	v_add_f32_e32 v3, v10, v3
	v_add_f32_e32 v8, v2, v0
	;; [unrolled: 1-line block ×3, first 2 shown]
	v_sub_f32_e32 v2, v2, v0
	v_fmac_f32_e32 v10, -0.5, v38
	v_add_f32_e32 v40, v3, v1
	s_waitcnt vmcnt(9)
	v_add_f32_e32 v1, v6, v22
	v_add_f32_e32 v3, v6, v11
	v_fmac_f32_e32 v9, -0.5, v8
	v_fmamk_f32 v41, v2, 0xbf5db3d7, v10
	v_fmac_f32_e32 v10, 0x3f5db3d7, v2
	v_add_f32_e32 v2, v7, v23
	v_fmac_f32_e32 v11, -0.5, v1
	v_sub_f32_e32 v1, v7, v23
	v_add_f32_e32 v7, v7, v12
	v_add_f32_e32 v3, v22, v3
	v_fmac_f32_e32 v12, -0.5, v2
	v_sub_f32_e32 v2, v6, v22
	v_fmamk_f32 v6, v1, 0x3f5db3d7, v11
	v_fmac_f32_e32 v11, 0xbf5db3d7, v1
	s_waitcnt vmcnt(6)
	v_add_f32_e32 v1, v4, v32
	v_add_f32_e32 v43, v23, v7
	v_fmamk_f32 v44, v2, 0xbf5db3d7, v12
	v_fmac_f32_e32 v12, 0x3f5db3d7, v2
	v_add_f32_e32 v2, v5, v33
	v_add_f32_e32 v7, v4, v13
	v_fmac_f32_e32 v13, -0.5, v1
	v_sub_f32_e32 v1, v5, v33
	v_add_f32_e32 v5, v5, v14
	v_fmac_f32_e32 v14, -0.5, v2
	v_sub_f32_e32 v2, v4, v32
	s_waitcnt vmcnt(4)
	v_add_f32_e32 v22, v19, v31
	v_fmamk_f32 v4, v1, 0x3f5db3d7, v13
	v_fmac_f32_e32 v13, 0xbf5db3d7, v1
	s_waitcnt vmcnt(3)
	v_add_f32_e32 v1, v28, v30
	v_fmamk_f32 v45, v2, 0xbf5db3d7, v14
	v_fmac_f32_e32 v14, 0x3f5db3d7, v2
	v_add_f32_e32 v2, v29, v31
	v_add_f32_e32 v7, v32, v7
	;; [unrolled: 1-line block ×4, first 2 shown]
	v_fmac_f32_e32 v18, -0.5, v1
	v_sub_f32_e32 v1, v31, v29
	v_fmac_f32_e32 v19, -0.5, v2
	v_sub_f32_e32 v2, v30, v28
	v_add_f32_e32 v46, v29, v22
	s_waitcnt vmcnt(1)
	v_add_f32_e32 v22, v26, v20
	v_fmamk_f32 v23, v1, 0x3f5db3d7, v18
	v_fmac_f32_e32 v18, 0xbf5db3d7, v1
	s_waitcnt vmcnt(0)
	v_add_f32_e32 v1, v24, v26
	v_add_f32_e32 v0, v36, v0
	v_fmamk_f32 v8, v37, 0x3f5db3d7, v9
	v_fmamk_f32 v47, v2, 0xbf5db3d7, v19
	v_fmac_f32_e32 v19, 0x3f5db3d7, v2
	v_add_f32_e32 v2, v25, v27
	v_mad_u32_u24 v48, v65, 12, 0
	v_fmac_f32_e32 v9, 0xbf5db3d7, v37
	v_add_f32_e32 v5, v28, v5
	v_add_f32_e32 v28, v24, v22
	;; [unrolled: 1-line block ×3, first 2 shown]
	v_fmac_f32_e32 v20, -0.5, v1
	v_sub_f32_e32 v1, v27, v25
	v_fmac_f32_e32 v21, -0.5, v2
	v_sub_f32_e32 v2, v26, v24
	v_mad_i32_i24 v24, v15, 12, 0
	ds_write2_b32 v48, v0, v8 offset1:1
	ds_write_b32 v48, v9 offset:8
	v_lshlrev_b32_e32 v0, 3, v65
	v_and_b32_e32 v31, 0xff, v65
	v_add_f32_e32 v49, v25, v22
	v_mad_i32_i24 v22, v66, 12, 0
	v_mad_i32_i24 v51, v35, 12, 0
	v_fmamk_f32 v26, v1, 0x3f5db3d7, v20
	v_mad_i32_i24 v52, v34, 12, 0
	v_fmac_f32_e32 v20, 0xbf5db3d7, v1
	ds_write2_b32 v24, v3, v6 offset1:1
	ds_write_b32 v24, v11 offset:8
	v_sub_nc_u32_e32 v11, v48, v0
	v_mul_lo_u16 v30, 0xab, v31
	ds_write2_b32 v22, v7, v4 offset1:1
	ds_write_b32 v22, v13 offset:8
	ds_write2_b32 v51, v5, v23 offset1:1
	ds_write_b32 v51, v18 offset:8
	;; [unrolled: 2-line block ×3, first 2 shown]
	v_lshlrev_b32_e32 v18, 3, v15
	v_lshlrev_b32_e32 v23, 3, v66
	;; [unrolled: 1-line block ×4, first 2 shown]
	v_add_nc_u32_e32 v13, 0x400, v11
	v_add_nc_u32_e32 v25, 0x800, v11
	;; [unrolled: 1-line block ×3, first 2 shown]
	v_lshrrev_b16 v42, 9, v30
	v_sub_nc_u32_e32 v20, v24, v18
	v_sub_nc_u32_e32 v27, v22, v23
	;; [unrolled: 1-line block ×4, first 2 shown]
	v_fmamk_f32 v50, v2, 0xbf5db3d7, v21
	v_fmac_f32_e32 v21, 0x3f5db3d7, v2
	s_waitcnt lgkmcnt(0)
	s_barrier
	buffer_gl0_inv
	ds_read2_b32 v[4:5], v13 offset0:59 offset1:122
	ds_read2_b32 v[0:1], v25 offset0:55 offset1:118
	;; [unrolled: 1-line block ×5, first 2 shown]
	ds_read_b32 v39, v11
	ds_read_b32 v38, v20
	;; [unrolled: 1-line block ×5, first 2 shown]
	s_waitcnt lgkmcnt(0)
	s_barrier
	buffer_gl0_inv
	ds_write2_b32 v48, v40, v41 offset1:1
	v_mul_lo_u16 v40, v42, 3
	ds_write_b32 v48, v10 offset:8
	ds_write2_b32 v24, v43, v44 offset1:1
	ds_write_b32 v24, v12 offset:8
	ds_write2_b32 v22, v32, v45 offset1:1
	v_mov_b32_e32 v32, 4
	v_and_b32_e32 v30, 0xff, v15
	ds_write_b32 v22, v14 offset:8
	ds_write2_b32 v51, v46, v47 offset1:1
	ds_write_b32 v51, v19 offset:8
	ds_write2_b32 v52, v49, v50 offset1:1
	v_sub_nc_u16 v44, v65, v40
	ds_write_b32 v52, v21 offset:8
	s_waitcnt lgkmcnt(0)
	s_barrier
	buffer_gl0_inv
	v_lshlrev_b32_sdwa v10, v32, v44 dst_sel:DWORD dst_unused:UNUSED_PAD src0_sel:DWORD src1_sel:BYTE_0
	v_and_b32_e32 v12, 0xff, v66
	v_and_b32_e32 v14, 0xff, v35
	v_mov_b32_e32 v21, 0xaaab
	ds_read2_b32 v[53:54], v13 offset0:59 offset1:122
	global_load_dwordx4 v[45:48], v10, s[8:9]
	v_mul_lo_u16 v10, 0xab, v30
	ds_read2_b32 v[71:72], v25 offset0:55 offset1:118
	v_mov_b32_e32 v85, 36
	v_mul_lo_u16 v40, v30, 57
	v_mul_lo_u16 v41, v12, 57
	v_lshrrev_b16 v43, 9, v10
	v_mul_lo_u16 v10, 0xab, v12
	v_mul_u32_u24_sdwa v86, v42, v85 dst_sel:DWORD dst_unused:UNUSED_PAD src0_sel:WORD_0 src1_sel:DWORD
	v_lshrrev_b16 v40, 9, v40
	v_lshrrev_b16 v41, 9, v41
	v_mul_lo_u16 v19, v43, 3
	v_lshrrev_b16 v55, 9, v10
	v_mul_lo_u16 v10, 0xab, v14
	v_mul_u32_u24_sdwa v92, v43, v85 dst_sel:DWORD dst_unused:UNUSED_PAD src0_sel:WORD_0 src1_sel:DWORD
	v_mul_lo_u16 v14, v14, 57
	v_sub_nc_u16 v79, v15, v19
	v_mul_lo_u16 v19, v55, 3
	v_lshrrev_b16 v80, 9, v10
	v_mul_u32_u24_sdwa v10, v34, v21 dst_sel:DWORD dst_unused:UNUSED_PAD src0_sel:WORD_0 src1_sel:DWORD
	v_mul_u32_u24_sdwa v55, v55, v85 dst_sel:DWORD dst_unused:UNUSED_PAD src0_sel:WORD_0 src1_sel:DWORD
	v_lshlrev_b32_sdwa v21, v32, v79 dst_sel:DWORD dst_unused:UNUSED_PAD src0_sel:DWORD src1_sel:BYTE_0
	v_sub_nc_u16 v81, v66, v19
	v_mul_lo_u16 v19, v80, 3
	v_lshrrev_b32_e32 v82, 17, v10
	v_mul_u32_u24_sdwa v80, v80, v85 dst_sel:DWORD dst_unused:UNUSED_PAD src0_sel:WORD_0 src1_sel:DWORD
	global_load_dwordx4 v[49:52], v21, s[8:9]
	v_lshlrev_b32_sdwa v10, v32, v81 dst_sel:DWORD dst_unused:UNUSED_PAD src0_sel:DWORD src1_sel:BYTE_0
	v_sub_nc_u16 v83, v35, v19
	v_mul_lo_u16 v19, v82, 3
	v_lshrrev_b16 v14, 9, v14
	v_mul_lo_u16 v30, v30, 19
	global_load_dwordx4 v[57:60], v10, s[8:9]
	v_lshlrev_b32_sdwa v10, v32, v83 dst_sel:DWORD dst_unused:UNUSED_PAD src0_sel:DWORD src1_sel:BYTE_0
	v_sub_nc_u16 v84, v34, v19
	v_mul_lo_u16 v21, v31, 57
	v_mov_b32_e32 v19, 0xe38f
	v_mul_lo_u16 v31, v31, 19
	global_load_dwordx4 v[61:64], v10, s[8:9]
	v_lshlrev_b32_sdwa v10, v32, v84 dst_sel:DWORD dst_unused:UNUSED_PAD src0_sel:DWORD src1_sel:WORD_0
	v_lshrrev_b16 v21, 9, v21
	v_mul_u32_u24_sdwa v19, v34, v19 dst_sel:DWORD dst_unused:UNUSED_PAD src0_sel:WORD_0 src1_sel:DWORD
	v_mul_lo_u16 v12, v12, 19
	v_cmp_gt_u32_e64 s0, 9, v65
	global_load_dwordx4 v[67:70], v10, s[8:9]
	ds_read2_b32 v[73:74], v25 offset0:181 offset1:244
	ds_read2_b32 v[75:76], v13 offset0:185 offset1:248
	;; [unrolled: 1-line block ×3, first 2 shown]
	v_mov_b32_e32 v10, 2
	ds_read_b32 v87, v11
	ds_read_b32 v88, v20
	;; [unrolled: 1-line block ×5, first 2 shown]
	v_mul_lo_u16 v85, v21, 9
	v_lshrrev_b32_e32 v19, 19, v19
	s_waitcnt vmcnt(0) lgkmcnt(0)
	v_lshlrev_b32_sdwa v44, v10, v44 dst_sel:DWORD dst_unused:UNUSED_PAD src0_sel:DWORD src1_sel:BYTE_0
	s_barrier
	buffer_gl0_inv
	v_lshrrev_b16 v12, 9, v12
	v_add3_u32 v44, 0, v86, v44
	v_mul_f32_e32 v42, v53, v46
	v_mul_f32_e32 v46, v4, v46
	;; [unrolled: 1-line block ×4, first 2 shown]
	v_fma_f32 v93, v4, v45, -v42
	v_fmac_f32_e32 v46, v53, v45
	v_lshlrev_b32_sdwa v53, v10, v79 dst_sel:DWORD dst_unused:UNUSED_PAD src0_sel:DWORD src1_sel:BYTE_0
	v_fmac_f32_e32 v48, v72, v47
	v_lshlrev_b32_sdwa v72, v10, v81 dst_sel:DWORD dst_unused:UNUSED_PAD src0_sel:DWORD src1_sel:BYTE_0
	v_lshlrev_b32_sdwa v79, v10, v83 dst_sel:DWORD dst_unused:UNUSED_PAD src0_sel:DWORD src1_sel:BYTE_0
	v_fma_f32 v1, v1, v47, -v43
	v_mul_u32_u24_e32 v45, 36, v82
	v_lshlrev_b32_sdwa v81, v10, v84 dst_sel:DWORD dst_unused:UNUSED_PAD src0_sel:DWORD src1_sel:WORD_0
	v_add3_u32 v55, 0, v55, v72
	v_add3_u32 v72, 0, v80, v79
	v_sub_nc_u16 v4, v65, v85
	v_mul_lo_u16 v42, v40, 9
	v_add3_u32 v45, 0, v45, v81
	v_add3_u32 v53, 0, v92, v53
	v_mul_lo_u16 v43, v41, 9
	v_mul_lo_u16 v47, v14, 9
	v_sub_nc_u16 v42, v15, v42
	v_lshlrev_b32_sdwa v82, v32, v4 dst_sel:DWORD dst_unused:UNUSED_PAD src0_sel:DWORD src1_sel:BYTE_0
	v_lshlrev_b32_sdwa v4, v10, v4 dst_sel:DWORD dst_unused:UNUSED_PAD src0_sel:DWORD src1_sel:BYTE_0
	v_sub_nc_u16 v43, v66, v43
	v_mul_f32_e32 v79, v54, v50
	v_mul_f32_e32 v50, v5, v50
	;; [unrolled: 1-line block ×4, first 2 shown]
	v_lshlrev_b32_sdwa v83, v32, v42 dst_sel:DWORD dst_unused:UNUSED_PAD src0_sel:DWORD src1_sel:BYTE_0
	v_fma_f32 v5, v5, v49, -v79
	v_mul_f32_e32 v79, v74, v60
	v_mul_f32_e32 v60, v3, v60
	v_fmac_f32_e32 v50, v54, v49
	v_mul_f32_e32 v49, v75, v58
	v_mul_f32_e32 v54, v8, v58
	v_fma_f32 v2, v2, v51, -v80
	v_fmac_f32_e32 v52, v73, v51
	v_mul_f32_e32 v51, v76, v62
	v_mul_f32_e32 v58, v9, v62
	;; [unrolled: 1-line block ×3, first 2 shown]
	v_fma_f32 v3, v3, v59, -v79
	v_fmac_f32_e32 v60, v74, v59
	v_mul_f32_e32 v73, v71, v68
	v_mul_f32_e32 v59, v78, v70
	;; [unrolled: 1-line block ×5, first 2 shown]
	v_fma_f32 v8, v8, v57, -v49
	v_fmac_f32_e32 v54, v75, v57
	v_fma_f32 v9, v9, v61, -v51
	v_fma_f32 v6, v6, v63, -v62
	;; [unrolled: 1-line block ×4, first 2 shown]
	v_fmac_f32_e32 v58, v76, v61
	v_fmac_f32_e32 v64, v77, v63
	;; [unrolled: 1-line block ×4, first 2 shown]
	v_add_f32_e32 v49, v93, v1
	v_sub_f32_e32 v57, v46, v48
	v_add_f32_e32 v67, v87, v46
	v_add_f32_e32 v46, v46, v48
	v_add_f32_e32 v59, v5, v2
	v_sub_f32_e32 v62, v50, v52
	v_add_f32_e32 v80, v88, v50
	v_add_f32_e32 v50, v50, v52
	;; [unrolled: 1-line block ×5, first 2 shown]
	v_sub_f32_e32 v77, v54, v60
	v_add_f32_e32 v81, v89, v54
	v_add_f32_e32 v54, v54, v60
	;; [unrolled: 1-line block ×3, first 2 shown]
	v_sub_f32_e32 v63, v93, v1
	v_add_f32_e32 v69, v37, v8
	v_sub_f32_e32 v78, v58, v64
	v_sub_f32_e32 v79, v68, v70
	v_add_f32_e32 v84, v90, v58
	v_add_f32_e32 v58, v58, v64
	;; [unrolled: 1-line block ×4, first 2 shown]
	v_fmac_f32_e32 v39, -0.5, v49
	v_fmac_f32_e32 v87, -0.5, v46
	v_add_f32_e32 v61, v38, v5
	v_sub_f32_e32 v5, v5, v2
	v_fmac_f32_e32 v38, -0.5, v59
	v_fmac_f32_e32 v88, -0.5, v50
	v_add_f32_e32 v75, v36, v9
	v_add_f32_e32 v76, v33, v0
	v_sub_f32_e32 v8, v8, v3
	v_fmac_f32_e32 v37, -0.5, v71
	v_fmac_f32_e32 v36, -0.5, v73
	;; [unrolled: 1-line block ×4, first 2 shown]
	v_sub_f32_e32 v9, v9, v6
	v_sub_f32_e32 v0, v0, v7
	v_add_f32_e32 v1, v51, v1
	v_add_f32_e32 v48, v67, v48
	;; [unrolled: 1-line block ×4, first 2 shown]
	v_fmac_f32_e32 v90, -0.5, v58
	v_fmac_f32_e32 v91, -0.5, v68
	v_fmamk_f32 v52, v57, 0x3f5db3d7, v39
	v_fmamk_f32 v69, v63, 0xbf5db3d7, v87
	v_fmac_f32_e32 v39, 0xbf5db3d7, v57
	v_fmac_f32_e32 v87, 0x3f5db3d7, v63
	v_add_f32_e32 v2, v61, v2
	v_add_f32_e32 v51, v85, v70
	v_fmamk_f32 v54, v62, 0x3f5db3d7, v38
	v_fmamk_f32 v70, v5, 0xbf5db3d7, v88
	v_fmac_f32_e32 v38, 0xbf5db3d7, v62
	v_fmac_f32_e32 v88, 0x3f5db3d7, v5
	v_add_f32_e32 v49, v81, v60
	v_fmamk_f32 v57, v77, 0x3f5db3d7, v37
	v_fmamk_f32 v58, v78, 0x3f5db3d7, v36
	;; [unrolled: 1-line block ×4, first 2 shown]
	v_add_f32_e32 v6, v75, v6
	v_add_f32_e32 v7, v76, v7
	;; [unrolled: 1-line block ×3, first 2 shown]
	v_fmac_f32_e32 v37, 0xbf5db3d7, v77
	v_fmac_f32_e32 v36, 0xbf5db3d7, v78
	;; [unrolled: 1-line block ×4, first 2 shown]
	v_fmamk_f32 v8, v9, 0xbf5db3d7, v90
	v_fmac_f32_e32 v90, 0x3f5db3d7, v9
	v_fmamk_f32 v9, v0, 0xbf5db3d7, v91
	v_fmac_f32_e32 v91, 0x3f5db3d7, v0
	ds_write2_b32 v44, v1, v52 offset1:3
	ds_write_b32 v44, v39 offset:24
	ds_write2_b32 v53, v2, v54 offset1:3
	ds_write_b32 v53, v38 offset:24
	;; [unrolled: 2-line block ×5, first 2 shown]
	s_waitcnt lgkmcnt(0)
	s_barrier
	buffer_gl0_inv
	ds_read2_b32 v[57:58], v13 offset0:59 offset1:122
	ds_read2_b32 v[59:60], v25 offset0:55 offset1:118
	ds_read_b32 v5, v11
	ds_read_b32 v3, v20
	;; [unrolled: 1-line block ×5, first 2 shown]
	ds_read2_b32 v[61:62], v25 offset0:181 offset1:244
	ds_read2_b32 v[63:64], v13 offset0:185 offset1:248
	;; [unrolled: 1-line block ×3, first 2 shown]
	s_waitcnt lgkmcnt(0)
	s_barrier
	buffer_gl0_inv
	ds_write2_b32 v44, v48, v69 offset1:3
	ds_write_b32 v44, v87 offset:24
	ds_write2_b32 v53, v46, v70 offset1:3
	ds_write_b32 v53, v88 offset:24
	;; [unrolled: 2-line block ×5, first 2 shown]
	v_mul_lo_u16 v48, v19, 9
	v_sub_nc_u16 v33, v35, v47
	s_waitcnt lgkmcnt(0)
	s_barrier
	buffer_gl0_inv
	v_sub_nc_u16 v34, v34, v48
	global_load_dwordx4 v[6:9], v82, s[8:9] offset:48
	v_lshlrev_b32_sdwa v39, v32, v43 dst_sel:DWORD dst_unused:UNUSED_PAD src0_sel:DWORD src1_sel:BYTE_0
	global_load_dwordx4 v[35:38], v83, s[8:9] offset:48
	v_lshlrev_b32_sdwa v49, v32, v33 dst_sel:DWORD dst_unused:UNUSED_PAD src0_sel:DWORD src1_sel:BYTE_0
	v_lshlrev_b32_sdwa v32, v32, v34 dst_sel:DWORD dst_unused:UNUSED_PAD src0_sel:DWORD src1_sel:WORD_0
	v_lshrrev_b16 v83, 9, v31
	global_load_dwordx4 v[44:47], v39, s[8:9] offset:48
	v_lshrrev_b16 v84, 9, v30
	s_clause 0x1
	global_load_dwordx4 v[48:51], v49, s[8:9] offset:48
	global_load_dwordx4 v[52:55], v32, s[8:9] offset:48
	v_mov_b32_e32 v32, 0x6c
	v_mul_lo_u16 v30, v83, 27
	v_mul_lo_u16 v31, v84, 27
	v_mul_u32_u24_e32 v19, 0x6c, v19
	v_lshlrev_b32_sdwa v34, v10, v34 dst_sel:DWORD dst_unused:UNUSED_PAD src0_sel:DWORD src1_sel:WORD_0
	v_mul_u32_u24_sdwa v21, v21, v32 dst_sel:DWORD dst_unused:UNUSED_PAD src0_sel:WORD_0 src1_sel:DWORD
	v_mul_u32_u24_sdwa v39, v40, v32 dst_sel:DWORD dst_unused:UNUSED_PAD src0_sel:WORD_0 src1_sel:DWORD
	v_lshlrev_b32_sdwa v40, v10, v42 dst_sel:DWORD dst_unused:UNUSED_PAD src0_sel:DWORD src1_sel:BYTE_0
	v_mul_u32_u24_sdwa v41, v41, v32 dst_sel:DWORD dst_unused:UNUSED_PAD src0_sel:WORD_0 src1_sel:DWORD
	v_mul_u32_u24_sdwa v14, v14, v32 dst_sel:DWORD dst_unused:UNUSED_PAD src0_sel:WORD_0 src1_sel:DWORD
	v_sub_nc_u16 v85, v65, v30
	v_sub_nc_u16 v87, v15, v31
	v_lshlrev_b32_sdwa v42, v10, v43 dst_sel:DWORD dst_unused:UNUSED_PAD src0_sel:DWORD src1_sel:BYTE_0
	v_lshlrev_b32_sdwa v43, v10, v33 dst_sel:DWORD dst_unused:UNUSED_PAD src0_sel:DWORD src1_sel:BYTE_0
	ds_read2_b32 v[30:31], v13 offset0:59 offset1:122
	ds_read2_b32 v[32:33], v25 offset0:55 offset1:118
	v_add3_u32 v4, 0, v21, v4
	v_add3_u32 v21, 0, v39, v40
	ds_read2_b32 v[39:40], v25 offset0:181 offset1:244
	v_add3_u32 v74, 0, v41, v42
	v_add3_u32 v14, 0, v14, v43
	;; [unrolled: 1-line block ×3, first 2 shown]
	ds_read2_b32 v[41:42], v13 offset0:185 offset1:248
	ds_read2_b32 v[69:70], v26 offset0:51 offset1:114
	ds_read_b32 v34, v11
	ds_read_b32 v43, v20
	;; [unrolled: 1-line block ×5, first 2 shown]
	v_mov_b32_e32 v71, 5
	v_mul_lo_u16 v72, v12, 27
	s_waitcnt vmcnt(0) lgkmcnt(0)
	s_barrier
	buffer_gl0_inv
	v_lshlrev_b32_sdwa v73, v71, v85 dst_sel:DWORD dst_unused:UNUSED_PAD src0_sel:DWORD src1_sel:BYTE_0
	v_mul_f32_e32 v75, v30, v7
	v_mul_f32_e32 v7, v57, v7
	;; [unrolled: 1-line block ×12, first 2 shown]
	v_fma_f32 v57, v57, v6, -v75
	v_fmac_f32_e32 v7, v30, v6
	v_fma_f32 v6, v60, v8, -v76
	v_fmac_f32_e32 v9, v33, v8
	v_mul_f32_e32 v8, v69, v51
	v_mul_f32_e32 v30, v67, v51
	;; [unrolled: 1-line block ×4, first 2 shown]
	v_fma_f32 v53, v58, v35, -v77
	v_mul_f32_e32 v58, v70, v55
	v_mul_f32_e32 v47, v62, v47
	v_mul_f32_e32 v45, v63, v45
	v_fmac_f32_e32 v36, v31, v35
	v_fma_f32 v31, v61, v37, -v78
	v_mul_f32_e32 v55, v68, v55
	v_fmac_f32_e32 v38, v39, v37
	v_fma_f32 v35, v62, v46, -v79
	v_fma_f32 v37, v63, v44, -v80
	v_fmac_f32_e32 v49, v42, v48
	v_fmac_f32_e32 v30, v69, v50
	v_fma_f32 v33, v59, v52, -v33
	v_fmac_f32_e32 v51, v32, v52
	v_fma_f32 v32, v68, v54, -v58
	v_fmac_f32_e32 v47, v40, v46
	v_fmac_f32_e32 v45, v41, v44
	v_fma_f32 v39, v64, v48, -v81
	v_fma_f32 v8, v67, v50, -v8
	v_add_f32_e32 v41, v57, v6
	v_add_f32_e32 v50, v53, v31
	v_fmac_f32_e32 v55, v70, v54
	v_add_f32_e32 v58, v37, v35
	v_sub_f32_e32 v63, v49, v30
	v_add_f32_e32 v64, v88, v49
	v_add_f32_e32 v49, v49, v30
	;; [unrolled: 1-line block ×4, first 2 shown]
	v_sub_f32_e32 v42, v7, v9
	v_add_f32_e32 v44, v34, v7
	v_add_f32_e32 v7, v7, v9
	v_sub_f32_e32 v59, v45, v47
	v_add_f32_e32 v60, v86, v45
	v_add_f32_e32 v45, v45, v47
	;; [unrolled: 1-line block ×3, first 2 shown]
	v_fmac_f32_e32 v5, -0.5, v41
	v_add_f32_e32 v48, v3, v53
	v_sub_f32_e32 v52, v36, v38
	v_add_f32_e32 v54, v43, v36
	v_add_f32_e32 v36, v36, v38
	v_fmac_f32_e32 v3, -0.5, v50
	v_sub_f32_e32 v46, v57, v6
	v_add_f32_e32 v57, v2, v37
	v_add_f32_e32 v61, v1, v39
	v_sub_f32_e32 v39, v39, v8
	v_add_f32_e32 v67, v0, v33
	v_sub_f32_e32 v69, v51, v55
	v_fmac_f32_e32 v2, -0.5, v58
	v_fmac_f32_e32 v88, -0.5, v49
	v_fmac_f32_e32 v0, -0.5, v68
	v_sub_f32_e32 v37, v37, v35
	v_add_f32_e32 v70, v29, v51
	v_add_f32_e32 v51, v51, v55
	;; [unrolled: 1-line block ×3, first 2 shown]
	v_fmac_f32_e32 v34, -0.5, v7
	v_fmac_f32_e32 v86, -0.5, v45
	;; [unrolled: 1-line block ×3, first 2 shown]
	v_fmamk_f32 v40, v42, 0x3f5db3d7, v5
	v_fmac_f32_e32 v5, 0xbf5db3d7, v42
	v_sub_f32_e32 v53, v53, v31
	v_add_f32_e32 v7, v48, v31
	v_fmac_f32_e32 v43, -0.5, v36
	v_fmamk_f32 v42, v52, 0x3f5db3d7, v3
	v_fmac_f32_e32 v3, 0xbf5db3d7, v52
	v_add_f32_e32 v35, v57, v35
	v_add_f32_e32 v36, v60, v47
	v_fmamk_f32 v45, v59, 0x3f5db3d7, v2
	v_fmamk_f32 v47, v39, 0xbf5db3d7, v88
	v_fmac_f32_e32 v88, 0x3f5db3d7, v39
	v_fmamk_f32 v39, v69, 0x3f5db3d7, v0
	v_fmac_f32_e32 v0, 0xbf5db3d7, v69
	v_sub_f32_e32 v33, v33, v32
	v_add_f32_e32 v9, v44, v9
	v_add_f32_e32 v8, v61, v8
	;; [unrolled: 1-line block ×3, first 2 shown]
	v_fmac_f32_e32 v29, -0.5, v51
	v_fmamk_f32 v41, v46, 0xbf5db3d7, v34
	v_fmac_f32_e32 v34, 0x3f5db3d7, v46
	v_fmac_f32_e32 v2, 0xbf5db3d7, v59
	v_fmamk_f32 v46, v37, 0xbf5db3d7, v86
	v_fmac_f32_e32 v86, 0x3f5db3d7, v37
	v_fmamk_f32 v37, v63, 0x3f5db3d7, v1
	v_fmac_f32_e32 v1, 0xbf5db3d7, v63
	ds_write2_b32 v4, v6, v40 offset1:9
	ds_write_b32 v4, v5 offset:72
	ds_write2_b32 v21, v7, v42 offset1:9
	ds_write_b32 v21, v3 offset:72
	;; [unrolled: 2-line block ×5, first 2 shown]
	v_sub_nc_u16 v0, v66, v72
	v_add_f32_e32 v31, v54, v38
	v_fmamk_f32 v44, v53, 0xbf5db3d7, v43
	v_fmac_f32_e32 v43, 0x3f5db3d7, v53
	v_add_f32_e32 v38, v70, v55
	v_lshlrev_b32_sdwa v1, v71, v87 dst_sel:DWORD dst_unused:UNUSED_PAD src0_sel:DWORD src1_sel:BYTE_0
	v_add_f32_e32 v30, v64, v30
	v_fmamk_f32 v48, v33, 0xbf5db3d7, v29
	v_fmac_f32_e32 v29, 0x3f5db3d7, v33
	s_waitcnt lgkmcnt(0)
	s_barrier
	buffer_gl0_inv
	ds_read2_b32 v[62:63], v11 offset1:252
	ds_read2_b32 v[54:55], v13 offset0:59 offset1:122
	ds_read2_b32 v[75:76], v25 offset0:55 offset1:118
	;; [unrolled: 1-line block ×3, first 2 shown]
	ds_read_b32 v57, v20
	ds_read2_b32 v[79:80], v13 offset0:185 offset1:248
	ds_read2_b32 v[81:82], v26 offset0:51 offset1:114
	ds_read_b32 v52, v28
	ds_read_b32 v64, v27
	s_waitcnt lgkmcnt(0)
	s_barrier
	buffer_gl0_inv
	ds_write2_b32 v4, v9, v41 offset1:9
	ds_write_b32 v4, v34 offset:72
	ds_write2_b32 v21, v31, v44 offset1:9
	ds_write_b32 v21, v43 offset:72
	;; [unrolled: 2-line block ×5, first 2 shown]
	s_waitcnt lgkmcnt(0)
	s_barrier
	buffer_gl0_inv
	s_clause 0x1
	global_load_dwordx4 v[32:35], v73, s[8:9] offset:192
	global_load_dwordx4 v[36:39], v73, s[8:9] offset:208
	v_lshlrev_b32_sdwa v2, v71, v0 dst_sel:DWORD dst_unused:UNUSED_PAD src0_sel:DWORD src1_sel:BYTE_0
	s_clause 0x3
	global_load_dwordx4 v[40:43], v1, s[8:9] offset:192
	global_load_dwordx4 v[44:47], v2, s[8:9] offset:192
	global_load_dwordx4 v[67:70], v1, s[8:9] offset:208
	global_load_dwordx4 v[71:74], v2, s[8:9] offset:208
	v_mov_b32_e32 v1, 0x21c
	ds_read_b32 v19, v28
	v_lshlrev_b32_sdwa v8, v10, v85 dst_sel:DWORD dst_unused:UNUSED_PAD src0_sel:DWORD src1_sel:BYTE_0
	ds_read2_b32 v[85:86], v25 offset0:55 offset1:118
	v_lshlrev_b32_sdwa v9, v10, v87 dst_sel:DWORD dst_unused:UNUSED_PAD src0_sel:DWORD src1_sel:BYTE_0
	v_mul_u32_u24_sdwa v5, v83, v1 dst_sel:DWORD dst_unused:UNUSED_PAD src0_sel:WORD_0 src1_sel:DWORD
	v_mul_u32_u24_sdwa v6, v84, v1 dst_sel:DWORD dst_unused:UNUSED_PAD src0_sel:WORD_0 src1_sel:DWORD
	ds_read2_b32 v[83:84], v13 offset0:59 offset1:122
	v_mul_u32_u24_sdwa v7, v12, v1 dst_sel:DWORD dst_unused:UNUSED_PAD src0_sel:WORD_0 src1_sel:DWORD
	ds_read2_b32 v[87:88], v25 offset0:181 offset1:244
	v_lshlrev_b32_sdwa v10, v10, v0 dst_sel:DWORD dst_unused:UNUSED_PAD src0_sel:DWORD src1_sel:BYTE_0
	ds_read2_b32 v[0:1], v11 offset1:252
	ds_read2_b32 v[89:90], v13 offset0:185 offset1:248
	v_add3_u32 v8, 0, v5, v8
	v_add3_u32 v6, 0, v6, v9
	;; [unrolled: 1-line block ×3, first 2 shown]
	ds_read2_b32 v[91:92], v26 offset0:51 offset1:114
	ds_read_b32 v7, v27
	ds_read_b32 v9, v20
	v_add_nc_u32_e32 v2, 0x200, v11
	v_add_nc_u32_e32 v3, 0x600, v11
	;; [unrolled: 1-line block ×3, first 2 shown]
	s_waitcnt vmcnt(0) lgkmcnt(0)
	s_barrier
	buffer_gl0_inv
	v_mul_f32_e32 v12, v19, v33
	v_mul_f32_e32 v51, v52, v33
	;; [unrolled: 1-line block ×21, first 2 shown]
	v_fmac_f32_e32 v51, v19, v32
	v_fma_f32 v59, v55, v34, -v21
	v_mul_f32_e32 v19, v92, v74
	v_fma_f32 v60, v75, v36, -v33
	v_fma_f32 v58, v52, v32, -v12
	;; [unrolled: 1-line block ×8, first 2 shown]
	v_mul_f32_e32 v27, v77, v72
	v_mul_f32_e32 v12, v82, v74
	v_fmac_f32_e32 v50, v88, v38
	v_fmac_f32_e32 v28, v1, v40
	;; [unrolled: 1-line block ×3, first 2 shown]
	v_fma_f32 v1, v80, v46, -v43
	v_fmac_f32_e32 v14, v90, v46
	v_fma_f32 v44, v77, v71, -v70
	v_fma_f32 v46, v82, v73, -v19
	v_add_f32_e32 v19, v59, v60
	v_fmac_f32_e32 v53, v84, v34
	v_fmac_f32_e32 v49, v85, v36
	v_add_f32_e32 v36, v58, v61
	v_fmac_f32_e32 v31, v91, v69
	v_sub_f32_e32 v34, v58, v59
	v_sub_f32_e32 v35, v61, v60
	;; [unrolled: 1-line block ×4, first 2 shown]
	v_add_f32_e32 v40, v47, v54
	v_fmac_f32_e32 v29, v89, v42
	v_fmac_f32_e32 v30, v86, v67
	v_add_f32_e32 v43, v52, v55
	v_fmac_f32_e32 v27, v87, v71
	v_fmac_f32_e32 v12, v92, v73
	v_add_f32_e32 v21, v62, v58
	v_sub_f32_e32 v32, v51, v50
	v_sub_f32_e32 v67, v45, v1
	v_sub_f32_e32 v68, v46, v44
	v_add_f32_e32 v69, v1, v44
	v_add_f32_e32 v70, v45, v46
	v_fma_f32 v19, -0.5, v19, v62
	v_sub_f32_e32 v33, v53, v49
	v_sub_f32_e32 v48, v47, v52
	;; [unrolled: 1-line block ×3, first 2 shown]
	v_fmac_f32_e32 v62, -0.5, v36
	v_add_f32_e32 v39, v57, v52
	v_sub_f32_e32 v74, v28, v31
	v_add_f32_e32 v34, v34, v35
	v_add_f32_e32 v35, v37, v38
	v_fma_f32 v37, -0.5, v40, v57
	v_sub_f32_e32 v41, v52, v47
	v_sub_f32_e32 v42, v55, v54
	v_add_f32_e32 v71, v64, v45
	v_sub_f32_e32 v75, v29, v30
	v_fmac_f32_e32 v57, -0.5, v43
	v_sub_f32_e32 v76, v10, v12
	v_sub_f32_e32 v77, v14, v27
	v_add_f32_e32 v21, v21, v59
	v_add_f32_e32 v40, v67, v68
	v_fma_f32 v67, -0.5, v69, v64
	v_fmac_f32_e32 v64, -0.5, v70
	v_fmamk_f32 v43, v32, 0x3f737871, v19
	v_add_f32_e32 v38, v48, v63
	v_fmamk_f32 v48, v33, 0xbf737871, v62
	v_fmac_f32_e32 v62, 0x3f737871, v33
	v_fmac_f32_e32 v19, 0xbf737871, v32
	v_add_f32_e32 v39, v39, v47
	v_fmamk_f32 v63, v74, 0x3f737871, v37
	v_add_f32_e32 v36, v41, v42
	v_add_f32_e32 v42, v71, v1
	v_fmac_f32_e32 v37, 0xbf737871, v74
	v_fmamk_f32 v68, v75, 0xbf737871, v57
	v_fmac_f32_e32 v57, 0x3f737871, v75
	v_sub_f32_e32 v72, v1, v45
	v_sub_f32_e32 v73, v44, v46
	v_add_f32_e32 v21, v21, v60
	v_fmamk_f32 v69, v76, 0x3f737871, v67
	v_fmac_f32_e32 v67, 0xbf737871, v76
	v_fmamk_f32 v70, v77, 0xbf737871, v64
	v_fmac_f32_e32 v64, 0x3f737871, v77
	v_fmac_f32_e32 v43, 0x3f167918, v33
	;; [unrolled: 1-line block ×5, first 2 shown]
	v_add_f32_e32 v39, v39, v54
	v_fmac_f32_e32 v63, 0x3f167918, v75
	v_add_f32_e32 v42, v42, v44
	v_fmac_f32_e32 v37, 0xbf167918, v75
	v_fmac_f32_e32 v68, 0x3f167918, v74
	;; [unrolled: 1-line block ×3, first 2 shown]
	v_add_f32_e32 v41, v72, v73
	v_add_f32_e32 v21, v21, v61
	v_fmac_f32_e32 v69, 0x3f167918, v77
	v_fmac_f32_e32 v67, 0xbf167918, v77
	;; [unrolled: 1-line block ×8, first 2 shown]
	v_add_f32_e32 v32, v39, v55
	v_fmac_f32_e32 v63, 0x3e9e377a, v36
	v_add_f32_e32 v33, v42, v46
	v_fmac_f32_e32 v37, 0x3e9e377a, v36
	v_fmac_f32_e32 v68, 0x3e9e377a, v38
	;; [unrolled: 1-line block ×7, first 2 shown]
	ds_write2_b32 v8, v21, v43 offset1:27
	ds_write2_b32 v8, v48, v62 offset0:54 offset1:81
	ds_write_b32 v8, v19 offset:432
	ds_write2_b32 v6, v32, v63 offset1:27
	ds_write2_b32 v6, v68, v57 offset0:54 offset1:81
	ds_write_b32 v6, v37 offset:432
	;; [unrolled: 3-line block ×3, first 2 shown]
	s_waitcnt lgkmcnt(0)
	s_barrier
	buffer_gl0_inv
	ds_read2_b32 v[32:33], v11 offset1:135
	ds_read2_b32 v[34:35], v2 offset0:70 offset1:142
	ds_read2_b32 v[36:37], v13 offset0:77 offset1:149
	;; [unrolled: 1-line block ×5, first 2 shown]
	ds_read_b32 v71, v20
	ds_read_b32 v72, v11 offset:3492
	v_sub_nc_u32_e32 v19, 0, v23
	v_sub_nc_u32_e32 v48, 0, v18
                                        ; implicit-def: $vgpr18
                                        ; implicit-def: $vgpr21
                                        ; implicit-def: $vgpr23
	v_add_nc_u32_e32 v57, v22, v19
	s_and_saveexec_b32 s1, s0
	s_cbranch_execz .LBB0_15
; %bb.14:
	ds_read_b32 v67, v57
	ds_read2_b32 v[18:19], v13 offset0:5 offset1:140
	ds_read2_b32 v[20:21], v25 offset0:19 offset1:154
	;; [unrolled: 1-line block ×3, first 2 shown]
.LBB0_15:
	s_or_b32 exec_lo, exec_lo, s1
	v_add_f32_e32 v62, v0, v51
	v_add_f32_e32 v26, v53, v49
	v_sub_f32_e32 v58, v58, v61
	v_sub_f32_e32 v59, v59, v60
	;; [unrolled: 1-line block ×4, first 2 shown]
	v_add_f32_e32 v62, v62, v53
	v_fma_f32 v26, -0.5, v26, v0
	v_add_f32_e32 v63, v51, v50
	v_sub_f32_e32 v51, v53, v51
	v_add_f32_e32 v60, v60, v61
	v_add_f32_e32 v61, v62, v49
	v_fmamk_f32 v53, v58, 0xbf737871, v26
	v_fmac_f32_e32 v0, -0.5, v63
	v_fmac_f32_e32 v26, 0x3f737871, v58
	v_sub_f32_e32 v49, v49, v50
	v_add_f32_e32 v50, v61, v50
	v_add_f32_e32 v61, v29, v30
	v_fmac_f32_e32 v53, 0xbf167918, v59
	v_fmamk_f32 v62, v59, 0x3f737871, v0
	v_fmac_f32_e32 v26, 0x3f167918, v59
	v_add_f32_e32 v49, v51, v49
	v_fmac_f32_e32 v0, 0xbf737871, v59
	v_add_f32_e32 v51, v9, v28
	v_fma_f32 v59, -0.5, v61, v9
	v_sub_f32_e32 v52, v52, v55
	v_fmac_f32_e32 v53, 0x3e9e377a, v60
	v_fmac_f32_e32 v62, 0xbf167918, v58
	;; [unrolled: 1-line block ×4, first 2 shown]
	v_add_f32_e32 v51, v51, v29
	v_fmamk_f32 v55, v52, 0xbf737871, v59
	v_sub_f32_e32 v47, v47, v54
	v_sub_f32_e32 v54, v28, v29
	;; [unrolled: 1-line block ×3, first 2 shown]
	v_fmac_f32_e32 v59, 0x3f737871, v52
	v_add_f32_e32 v60, v28, v31
	v_add_f32_e32 v51, v51, v30
	v_fmac_f32_e32 v55, 0xbf167918, v47
	v_add_f32_e32 v54, v54, v58
	v_fmac_f32_e32 v59, 0x3f167918, v47
	v_fmac_f32_e32 v9, -0.5, v60
	v_fmac_f32_e32 v62, 0x3e9e377a, v49
	v_fmac_f32_e32 v0, 0x3e9e377a, v49
	v_add_f32_e32 v49, v51, v31
	v_fmac_f32_e32 v55, 0x3e9e377a, v54
	v_fmac_f32_e32 v59, 0x3e9e377a, v54
	v_fmamk_f32 v51, v47, 0x3f737871, v9
	v_add_f32_e32 v54, v14, v27
	v_sub_f32_e32 v28, v29, v28
	v_sub_f32_e32 v29, v30, v31
	v_fmac_f32_e32 v9, 0xbf737871, v47
	v_add_f32_e32 v30, v7, v10
	v_sub_f32_e32 v31, v45, v46
	v_add_f32_e32 v45, v10, v12
	v_fma_f32 v68, -0.5, v54, v7
	v_fmac_f32_e32 v51, 0xbf167918, v52
	v_add_f32_e32 v28, v28, v29
	v_fmac_f32_e32 v9, 0x3f167918, v52
	v_add_f32_e32 v29, v30, v14
	v_sub_f32_e32 v1, v1, v44
	v_fmac_f32_e32 v7, -0.5, v45
	v_fmamk_f32 v30, v31, 0xbf737871, v68
	v_fmac_f32_e32 v51, 0x3e9e377a, v28
	v_fmac_f32_e32 v9, 0x3e9e377a, v28
	v_add_f32_e32 v28, v29, v27
	v_sub_f32_e32 v29, v10, v14
	v_sub_f32_e32 v44, v12, v27
	v_fmac_f32_e32 v68, 0x3f737871, v31
	v_fmamk_f32 v45, v1, 0x3f737871, v7
	v_sub_f32_e32 v10, v14, v10
	v_sub_f32_e32 v14, v27, v12
	v_fmac_f32_e32 v7, 0xbf737871, v1
	v_fmac_f32_e32 v30, 0xbf167918, v1
	v_add_f32_e32 v27, v29, v44
	v_fmac_f32_e32 v68, 0x3f167918, v1
	v_fmac_f32_e32 v45, 0xbf167918, v31
	v_add_f32_e32 v1, v10, v14
	v_fmac_f32_e32 v7, 0x3f167918, v31
	v_add_f32_e32 v10, v28, v12
	v_fmac_f32_e32 v30, 0x3e9e377a, v27
	v_fmac_f32_e32 v68, 0x3e9e377a, v27
	;; [unrolled: 1-line block ×4, first 2 shown]
	s_waitcnt lgkmcnt(0)
	s_barrier
	buffer_gl0_inv
	ds_write2_b32 v8, v50, v53 offset1:27
	ds_write2_b32 v8, v62, v0 offset0:54 offset1:81
	ds_write_b32 v8, v26 offset:432
	ds_write2_b32 v6, v49, v55 offset1:27
	ds_write2_b32 v6, v51, v9 offset0:54 offset1:81
	ds_write_b32 v6, v59 offset:432
	;; [unrolled: 3-line block ×3, first 2 shown]
	v_add_nc_u32_e32 v0, v24, v48
	s_waitcnt lgkmcnt(0)
	s_barrier
	buffer_gl0_inv
	ds_read2_b32 v[44:45], v11 offset1:135
	ds_read2_b32 v[46:47], v2 offset0:70 offset1:142
	ds_read2_b32 v[48:49], v13 offset0:77 offset1:149
	ds_read2_b32 v[50:51], v3 offset0:84 offset1:156
	ds_read2_b32 v[52:53], v25 offset0:91 offset1:163
	ds_read2_b32 v[54:55], v4 offset0:98 offset1:170
	ds_read_b32 v73, v0
	ds_read_b32 v74, v11 offset:3492
                                        ; implicit-def: $vgpr28
                                        ; implicit-def: $vgpr25
                                        ; implicit-def: $vgpr27
	s_and_saveexec_b32 s1, s0
	s_cbranch_execz .LBB0_17
; %bb.16:
	v_add_nc_u32_e32 v0, 0x400, v11
	v_add_nc_u32_e32 v1, 0x800, v11
	;; [unrolled: 1-line block ×3, first 2 shown]
	ds_read_b32 v68, v57
	ds_read2_b32 v[28:29], v0 offset0:5 offset1:140
	ds_read2_b32 v[24:25], v1 offset0:19 offset1:154
	;; [unrolled: 1-line block ×3, first 2 shown]
.LBB0_17:
	s_or_b32 exec_lo, exec_lo, s1
	s_and_saveexec_b32 s1, vcc_lo
	s_cbranch_execz .LBB0_20
; %bb.18:
	v_mul_u32_u24_e32 v0, 6, v65
	v_mul_i32_i24_e32 v30, 6, v15
	v_mov_b32_e32 v31, 0
	v_add_nc_u32_e32 v91, 0x87, v65
	v_add_nc_u32_e32 v92, 0x10e, v65
	v_lshlrev_b32_e32 v2, 3, v0
	v_mad_u64_u32 v[75:76], null, s2, v65, 0
	v_lshlrev_b64 v[0:1], 3, v[30:31]
	v_add_nc_u32_e32 v93, 0x195, v65
	s_clause 0x1
	global_load_dwordx4 v[57:60], v2, s[8:9] offset:1088
	global_load_dwordx4 v[61:64], v2, s[8:9] offset:1072
	v_add_nc_u32_e32 v94, 0x21c, v65
	v_mad_u64_u32 v[77:78], null, s2, v56, 0
	v_add_co_u32 v0, vcc_lo, s8, v0
	v_add_co_ci_u32_e32 v1, vcc_lo, s9, v1, vcc_lo
	s_clause 0x3
	global_load_dwordx4 v[12:15], v[0:1], off offset:1088
	global_load_dwordx4 v[4:7], v[0:1], off offset:1072
	;; [unrolled: 1-line block ×3, first 2 shown]
	global_load_dwordx4 v[0:3], v2, s[8:9] offset:1056
	v_add_nc_u32_e32 v95, 0x2a3, v65
	v_mad_u64_u32 v[79:80], null, s2, v91, 0
	v_mad_u64_u32 v[81:82], null, s2, v92, 0
	;; [unrolled: 1-line block ×3, first 2 shown]
	v_add_co_u32 v69, vcc_lo, s12, v16
	v_mad_u64_u32 v[85:86], null, s2, v94, 0
	v_add_co_ci_u32_e32 v70, vcc_lo, s13, v17, vcc_lo
	v_mad_u64_u32 v[87:88], null, s2, v95, 0
	v_mov_b32_e32 v17, v76
	v_mov_b32_e32 v16, v78
	v_add_nc_u32_e32 v96, 0x32a, v65
	v_add_nc_u32_e32 v97, 0xc6, v65
	v_mad_u64_u32 v[89:90], null, s2, v96, 0
	s_waitcnt vmcnt(5) lgkmcnt(2)
	v_mul_f32_e32 v30, v55, v60
	v_mul_f32_e32 v99, v43, v60
	v_mul_f32_e32 v100, v41, v58
	s_waitcnt vmcnt(4)
	v_mul_f32_e32 v101, v39, v64
	v_mul_f32_e32 v60, v49, v62
	v_mul_f32_e32 v76, v53, v58
	v_mul_f32_e32 v58, v51, v64
	v_fma_f32 v43, v43, v59, -v30
	v_mov_b32_e32 v30, v80
	v_fmac_f32_e32 v100, v53, v57
	v_mul_f32_e32 v53, v37, v62
	v_fmac_f32_e32 v101, v51, v63
	v_fma_f32 v51, v37, v61, -v60
	v_mov_b32_e32 v37, v82
	v_fma_f32 v102, v39, v63, -v58
	v_mov_b32_e32 v39, v84
	v_fmac_f32_e32 v99, v55, v59
	v_mad_u64_u32 v[55:56], null, s3, v56, v[16:17]
	v_mov_b32_e32 v16, v86
	v_fma_f32 v41, v41, v57, -v76
	v_mad_u64_u32 v[56:57], null, s3, v91, v[30:31]
	v_mov_b32_e32 v30, v88
	v_mad_u64_u32 v[57:58], null, s3, v92, v[37:38]
	v_mad_u64_u32 v[58:59], null, s3, v93, v[39:40]
	;; [unrolled: 1-line block ×3, first 2 shown]
	v_fmac_f32_e32 v53, v49, v61
	v_mad_u64_u32 v[60:61], null, s3, v65, v[17:18]
	v_mad_u64_u32 v[61:62], null, s3, v95, v[30:31]
	;; [unrolled: 1-line block ×3, first 2 shown]
	v_add_nc_u32_e32 v30, 0x14d, v65
	v_mov_b32_e32 v16, v90
	v_mov_b32_e32 v78, v55
	;; [unrolled: 1-line block ×4, first 2 shown]
	v_mad_u64_u32 v[93:94], null, s2, v30, 0
	v_mad_u64_u32 v[16:17], null, s3, v96, v[16:17]
	v_mov_b32_e32 v17, v92
	v_mov_b32_e32 v84, v58
	;; [unrolled: 1-line block ×5, first 2 shown]
	v_mad_u64_u32 v[62:63], null, s3, v97, v[17:18]
	v_mov_b32_e32 v17, v94
	v_mov_b32_e32 v90, v16
	s_waitcnt vmcnt(2)
	v_mul_f32_e32 v37, v52, v7
	v_mul_f32_e32 v7, v40, v7
	s_waitcnt vmcnt(1)
	v_mul_f32_e32 v39, v46, v9
	v_mad_u64_u32 v[55:56], null, s3, v30, v[17:18]
	v_add_nc_u32_e32 v30, 0x1d4, v65
	v_mov_b32_e32 v92, v62
	v_lshlrev_b64 v[61:62], 3, v[75:76]
	v_lshlrev_b64 v[75:76], 3, v[77:78]
	;; [unrolled: 1-line block ×3, first 2 shown]
	v_mad_u64_u32 v[95:96], null, s2, v30, 0
	v_mov_b32_e32 v94, v55
	v_lshlrev_b64 v[79:80], 3, v[81:82]
	v_lshlrev_b64 v[81:82], 3, v[83:84]
	;; [unrolled: 1-line block ×5, first 2 shown]
	v_mov_b32_e32 v17, v96
	v_lshlrev_b64 v[89:90], 3, v[91:92]
	v_lshlrev_b64 v[91:92], 3, v[93:94]
	v_add_co_u32 v93, vcc_lo, v69, v61
	v_mad_u64_u32 v[57:58], null, s3, v30, v[17:18]
	v_add_nc_u32_e32 v30, 0x25b, v65
	v_add_co_ci_u32_e32 v94, vcc_lo, v70, v62, vcc_lo
	v_add_co_u32 v75, vcc_lo, v69, v75
	v_mad_u64_u32 v[97:98], null, s2, v30, 0
	v_mov_b32_e32 v96, v57
	v_mul_f32_e32 v9, v34, v9
	v_fma_f32 v37, v40, v6, -v37
	s_waitcnt vmcnt(0)
	v_mul_f32_e32 v40, v47, v3
	v_mul_f32_e32 v3, v35, v3
	v_add_co_ci_u32_e32 v76, vcc_lo, v70, v76, vcc_lo
	v_mov_b32_e32 v17, v98
	v_add_co_u32 v77, vcc_lo, v69, v77
	v_add_co_ci_u32_e32 v78, vcc_lo, v70, v78, vcc_lo
	v_mad_u64_u32 v[58:59], null, s3, v30, v[17:18]
	v_add_nc_u32_e32 v30, 0x2e2, v65
	v_add_co_u32 v79, vcc_lo, v69, v79
	v_fmac_f32_e32 v7, v52, v6
	v_fmac_f32_e32 v9, v46, v8
	v_mad_u64_u32 v[16:17], null, s2, v30, 0
	v_fmac_f32_e32 v3, v47, v2
	v_add_co_ci_u32_e32 v80, vcc_lo, v70, v80, vcc_lo
	v_add_co_u32 v81, vcc_lo, v69, v81
	v_add_co_ci_u32_e32 v82, vcc_lo, v70, v82, vcc_lo
	v_mad_u64_u32 v[63:64], null, s3, v30, v[17:18]
	v_add_nc_u32_e32 v30, 0x369, v65
	v_add_co_u32 v83, vcc_lo, v69, v83
	v_add_co_ci_u32_e32 v84, vcc_lo, v70, v84, vcc_lo
	v_mad_u64_u32 v[55:56], null, s2, v30, 0
	v_add_co_u32 v85, vcc_lo, v69, v85
	v_sub_f32_e32 v6, v102, v51
	v_add_f32_e32 v49, v102, v51
	v_add_f32_e32 v51, v101, v53
	v_sub_f32_e32 v52, v101, v53
	v_mov_b32_e32 v17, v56
	v_add_co_ci_u32_e32 v86, vcc_lo, v70, v86, vcc_lo
	v_add_co_u32 v87, vcc_lo, v69, v87
	v_mad_u64_u32 v[56:57], null, s3, v30, v[17:18]
	v_mul_f32_e32 v17, v54, v13
	v_mul_f32_e32 v13, v42, v13
	s_waitcnt lgkmcnt(0)
	v_mul_f32_e32 v30, v74, v15
	v_mul_f32_e32 v15, v72, v15
	v_add_co_ci_u32_e32 v88, vcc_lo, v70, v88, vcc_lo
	v_fma_f32 v17, v42, v12, -v17
	v_fmac_f32_e32 v13, v54, v12
	v_mul_f32_e32 v12, v50, v5
	v_fma_f32 v30, v72, v14, -v30
	v_mul_f32_e32 v5, v38, v5
	v_fmac_f32_e32 v15, v74, v14
	v_mul_f32_e32 v14, v48, v11
	v_mul_f32_e32 v11, v36, v11
	;; [unrolled: 1-line block ×4, first 2 shown]
	v_fma_f32 v12, v38, v4, -v12
	v_fmac_f32_e32 v5, v50, v4
	v_fma_f32 v4, v36, v10, -v14
	v_fmac_f32_e32 v11, v48, v10
	v_fma_f32 v10, v34, v8, -v39
	v_fma_f32 v8, v33, v0, -v42
	v_fma_f32 v14, v35, v2, -v40
	v_fmac_f32_e32 v1, v45, v0
	v_sub_f32_e32 v2, v37, v12
	v_sub_f32_e32 v0, v10, v30
	;; [unrolled: 1-line block ×3, first 2 shown]
	v_add_f32_e32 v34, v9, v15
	v_add_f32_e32 v35, v7, v5
	;; [unrolled: 1-line block ×5, first 2 shown]
	v_sub_f32_e32 v9, v9, v15
	v_sub_f32_e32 v5, v7, v5
	;; [unrolled: 1-line block ×5, first 2 shown]
	v_add_f32_e32 v15, v1, v99
	v_add_f32_e32 v17, v3, v100
	;; [unrolled: 1-line block ×5, first 2 shown]
	v_sub_f32_e32 v1, v1, v99
	v_sub_f32_e32 v3, v3, v100
	;; [unrolled: 1-line block ×4, first 2 shown]
	v_add_f32_e32 v38, v15, v17
	v_add_f32_e32 v39, v8, v14
	;; [unrolled: 1-line block ×3, first 2 shown]
	v_sub_f32_e32 v40, v34, v35
	v_sub_f32_e32 v41, v35, v36
	v_add_f32_e32 v42, v34, v36
	v_add_f32_e32 v46, v10, v4
	v_sub_f32_e32 v47, v9, v5
	v_sub_f32_e32 v34, v36, v34
	;; [unrolled: 1-line block ×3, first 2 shown]
	v_add_f32_e32 v5, v5, v7
	v_sub_f32_e32 v33, v33, v0
	v_sub_f32_e32 v7, v7, v9
	v_add_co_u32 v89, vcc_lo, v69, v89
	v_sub_f32_e32 v43, v10, v12
	v_sub_f32_e32 v45, v12, v4
	;; [unrolled: 1-line block ×11, first 2 shown]
	v_add_f32_e32 v6, v6, v13
	v_sub_f32_e32 v54, v1, v52
	v_sub_f32_e32 v64, v52, v3
	v_add_f32_e32 v52, v52, v3
	v_sub_f32_e32 v13, v13, v11
	v_sub_f32_e32 v72, v3, v1
	v_add_f32_e32 v38, v51, v38
	v_add_f32_e32 v39, v49, v39
	;; [unrolled: 1-line block ×4, first 2 shown]
	v_mul_f32_e32 v37, 0xbf08b237, v37
	v_add_f32_e32 v5, v9, v5
	v_mul_f32_e32 v9, 0x3f4a47b2, v40
	v_mul_f32_e32 v41, 0x3d64c772, v41
	;; [unrolled: 1-line block ×5, first 2 shown]
	v_add_co_ci_u32_e32 v90, vcc_lo, v70, v90, vcc_lo
	v_add_co_u32 v61, vcc_lo, v69, v91
	v_add_co_ci_u32_e32 v62, vcc_lo, v70, v92, vcc_lo
	v_add_f32_e32 v49, v0, v2
	v_add_f32_e32 v6, v11, v6
	v_mul_f32_e32 v11, 0x3f4a47b2, v43
	v_mul_f32_e32 v42, 0x3d64c772, v45
	v_add_f32_e32 v45, v1, v52
	v_mul_f32_e32 v52, 0xbf08b237, v53
	v_mul_f32_e32 v53, 0x3f4a47b2, v10
	;; [unrolled: 1-line block ×8, first 2 shown]
	v_add_f32_e32 v1, v44, v38
	v_add_f32_e32 v0, v32, v39
	;; [unrolled: 1-line block ×4, first 2 shown]
	v_fmamk_f32 v32, v40, 0x3f4a47b2, v41
	v_fma_f32 v9, 0xbf3bfb3b, v34, -v9
	v_fma_f32 v34, 0x3f3bfb3b, v34, -v41
	;; [unrolled: 1-line block ×3, first 2 shown]
	v_fmamk_f32 v30, v30, 0x3eae86e6, v37
	v_fma_f32 v33, 0x3f5ff5aa, v33, -v37
	v_fma_f32 v37, 0xbeae86e6, v47, -v51
	v_fmamk_f32 v41, v47, 0x3eae86e6, v36
	v_fma_f32 v36, 0x3f5ff5aa, v7, -v36
	v_fmamk_f32 v7, v43, 0x3f4a47b2, v42
	v_fma_f32 v11, 0xbf3bfb3b, v4, -v11
	v_fma_f32 v4, 0x3f3bfb3b, v4, -v42
	v_fmamk_f32 v10, v10, 0x3f4a47b2, v48
	v_fma_f32 v42, 0xbf3bfb3b, v15, -v53
	v_fma_f32 v15, 0x3f3bfb3b, v15, -v48
	;; [unrolled: 1-line block ×3, first 2 shown]
	v_fmamk_f32 v44, v14, 0x3eae86e6, v52
	v_fmamk_f32 v14, v17, 0x3f4a47b2, v50
	v_fma_f32 v17, 0xbeae86e6, v54, -v92
	v_fmamk_f32 v46, v54, 0x3eae86e6, v64
	v_fma_f32 v47, 0xbf3bfb3b, v8, -v74
	v_fma_f32 v48, 0x3f5ff5aa, v13, -v52
	;; [unrolled: 1-line block ×3, first 2 shown]
	v_fmamk_f32 v13, v35, 0xbf955555, v3
	v_fmamk_f32 v12, v12, 0xbf955555, v2
	v_fmac_f32_e32 v41, 0x3ee1c552, v5
	v_fmac_f32_e32 v37, 0x3ee1c552, v5
	v_fmac_f32_e32 v36, 0x3ee1c552, v5
	v_fmamk_f32 v5, v38, 0xbf955555, v1
	v_fmamk_f32 v35, v39, 0xbf955555, v0
	v_fma_f32 v8, 0x3f3bfb3b, v8, -v50
	v_fmac_f32_e32 v30, 0x3ee1c552, v49
	v_fmac_f32_e32 v40, 0x3ee1c552, v49
	;; [unrolled: 1-line block ×7, first 2 shown]
	v_add_f32_e32 v32, v32, v13
	v_add_f32_e32 v38, v7, v12
	;; [unrolled: 1-line block ×9, first 2 shown]
	v_fmac_f32_e32 v43, 0x3ee1c552, v6
	v_add_f32_e32 v42, v42, v5
	v_mov_b32_e32 v98, v58
	v_fmac_f32_e32 v48, 0x3ee1c552, v6
	v_add_f32_e32 v50, v15, v5
	v_add_f32_e32 v52, v8, v35
	v_lshlrev_b64 v[59:60], 3, v[95:96]
	global_store_dwordx2 v[93:94], v[0:1], off
	v_add_f32_e32 v1, v30, v32
	v_sub_f32_e32 v0, v38, v41
	v_add_f32_e32 v5, v40, v39
	v_add_f32_e32 v6, v36, v11
	v_sub_f32_e32 v8, v11, v36
	v_sub_f32_e32 v11, v39, v40
	;; [unrolled: 1-line block ×3, first 2 shown]
	v_add_f32_e32 v12, v41, v38
	v_sub_f32_e32 v41, v34, v44
	v_add_f32_e32 v40, v46, v49
	v_add_f32_e32 v38, v17, v47
	v_sub_f32_e32 v32, v47, v17
	v_mov_b32_e32 v17, v63
	v_sub_f32_e32 v39, v42, v43
	v_lshlrev_b64 v[57:58], 3, v[97:98]
	v_sub_f32_e32 v4, v45, v37
	v_add_f32_e32 v10, v37, v45
	v_add_f32_e32 v37, v48, v50
	v_sub_f32_e32 v36, v52, v51
	v_add_f32_e32 v15, v44, v34
	v_sub_f32_e32 v35, v50, v48
	;; [unrolled: 2-line block ×3, first 2 shown]
	v_add_f32_e32 v9, v33, v9
	v_add_f32_e32 v33, v43, v42
	v_sub_f32_e32 v14, v49, v46
	global_store_dwordx2 v[77:78], v[40:41], off
	global_store_dwordx2 v[79:80], v[38:39], off
	;; [unrolled: 1-line block ×8, first 2 shown]
	v_add_co_u32 v2, vcc_lo, v69, v59
	v_lshlrev_b64 v[12:13], 3, v[16:17]
	v_add_co_ci_u32_e32 v3, vcc_lo, v70, v60, vcc_lo
	v_add_co_u32 v14, vcc_lo, v69, v57
	v_lshlrev_b64 v[16:17], 3, v[55:56]
	v_add_co_ci_u32_e32 v15, vcc_lo, v70, v58, vcc_lo
	v_add_co_u32 v12, vcc_lo, v69, v12
	v_add_co_ci_u32_e32 v13, vcc_lo, v70, v13, vcc_lo
	v_add_co_u32 v16, vcc_lo, v69, v16
	v_add_co_ci_u32_e32 v17, vcc_lo, v70, v17, vcc_lo
	global_store_dwordx2 v[61:62], v[10:11], off
	global_store_dwordx2 v[2:3], v[8:9], off
	;; [unrolled: 1-line block ×5, first 2 shown]
	s_and_b32 exec_lo, exec_lo, s0
	s_cbranch_execz .LBB0_20
; %bb.19:
	v_add_nc_u32_e32 v0, -9, v65
	v_add_nc_u32_e32 v38, 0x7e, v65
	v_add_nc_u32_e32 v40, 0x105, v65
	;; [unrolled: 1-line block ×4, first 2 shown]
	v_cndmask_b32_e64 v0, v0, v66, s0
	v_add_nc_u32_e32 v43, 0x29a, v65
	v_add_nc_u32_e32 v44, 0x321, v65
	v_add_nc_u32_e32 v45, 0x3a8, v65
	v_mad_u64_u32 v[12:13], null, s2, v38, 0
	v_mul_i32_i24_e32 v30, 6, v0
	v_mad_u64_u32 v[14:15], null, s2, v40, 0
	v_mad_u64_u32 v[16:17], null, s2, v41, 0
	v_lshlrev_b64 v[0:1], 3, v[30:31]
	v_mad_u64_u32 v[30:31], null, s2, v42, 0
	v_mad_u64_u32 v[32:33], null, s2, v43, 0
	;; [unrolled: 1-line block ×3, first 2 shown]
	v_add_co_u32 v8, vcc_lo, s8, v0
	v_add_co_ci_u32_e32 v9, vcc_lo, s9, v1, vcc_lo
	v_mad_u64_u32 v[36:37], null, s2, v45, 0
	s_clause 0x2
	global_load_dwordx4 v[0:3], v[8:9], off offset:1056
	global_load_dwordx4 v[4:7], v[8:9], off offset:1072
	;; [unrolled: 1-line block ×3, first 2 shown]
	v_mad_u64_u32 v[38:39], null, s3, v38, v[13:14]
	v_mad_u64_u32 v[39:40], null, s3, v40, v[15:16]
	;; [unrolled: 1-line block ×7, first 2 shown]
	v_mov_b32_e32 v13, v38
	v_mov_b32_e32 v15, v39
	v_mov_b32_e32 v17, v40
	v_mov_b32_e32 v31, v41
	v_mov_b32_e32 v33, v42
	v_mov_b32_e32 v35, v43
	v_lshlrev_b64 v[12:13], 3, v[12:13]
	v_lshlrev_b64 v[14:15], 3, v[14:15]
	;; [unrolled: 1-line block ×5, first 2 shown]
	v_mov_b32_e32 v37, v44
	v_add_co_u32 v12, vcc_lo, v69, v12
	v_add_co_ci_u32_e32 v13, vcc_lo, v70, v13, vcc_lo
	v_add_co_u32 v14, vcc_lo, v69, v14
	v_add_co_ci_u32_e32 v15, vcc_lo, v70, v15, vcc_lo
	;; [unrolled: 2-line block ×3, first 2 shown]
	v_lshlrev_b64 v[34:35], 3, v[34:35]
	v_add_co_u32 v30, vcc_lo, v69, v30
	v_add_co_ci_u32_e32 v31, vcc_lo, v70, v31, vcc_lo
	v_lshlrev_b64 v[36:37], 3, v[36:37]
	v_add_co_u32 v32, vcc_lo, v69, v32
	v_add_co_ci_u32_e32 v33, vcc_lo, v70, v33, vcc_lo
	v_add_co_u32 v34, vcc_lo, v69, v34
	v_add_co_ci_u32_e32 v35, vcc_lo, v70, v35, vcc_lo
	;; [unrolled: 2-line block ×3, first 2 shown]
	s_waitcnt vmcnt(2)
	v_mul_f32_e32 v38, v28, v1
	v_mul_f32_e32 v1, v18, v1
	v_mul_f32_e32 v39, v29, v3
	v_mul_f32_e32 v3, v19, v3
	s_waitcnt vmcnt(1)
	v_mul_f32_e32 v40, v24, v5
	v_mul_f32_e32 v5, v20, v5
	v_mul_f32_e32 v41, v25, v7
	v_mul_f32_e32 v7, v21, v7
	s_waitcnt vmcnt(0)
	v_mul_f32_e32 v42, v26, v9
	v_mul_f32_e32 v9, v22, v9
	v_mul_f32_e32 v43, v27, v11
	v_mul_f32_e32 v11, v23, v11
	v_fma_f32 v18, v18, v0, -v38
	v_fmac_f32_e32 v1, v28, v0
	v_fma_f32 v0, v19, v2, -v39
	v_fmac_f32_e32 v3, v29, v2
	;; [unrolled: 2-line block ×3, first 2 shown]
	v_fma_f32 v4, v21, v6, -v41
	v_fma_f32 v19, v23, v10, -v43
	v_fmac_f32_e32 v11, v27, v10
	v_fmac_f32_e32 v7, v25, v6
	v_fma_f32 v6, v22, v8, -v42
	v_fmac_f32_e32 v9, v26, v8
	v_add_f32_e32 v8, v18, v19
	v_add_f32_e32 v10, v1, v11
	v_sub_f32_e32 v18, v18, v19
	v_sub_f32_e32 v1, v1, v11
	v_add_f32_e32 v11, v0, v6
	v_add_f32_e32 v19, v3, v9
	v_sub_f32_e32 v0, v0, v6
	v_sub_f32_e32 v3, v3, v9
	;; [unrolled: 4-line block ×4, first 2 shown]
	v_sub_f32_e32 v8, v8, v6
	v_sub_f32_e32 v10, v10, v9
	v_sub_f32_e32 v11, v6, v11
	v_sub_f32_e32 v19, v9, v19
	v_add_f32_e32 v22, v2, v0
	v_add_f32_e32 v23, v4, v3
	v_sub_f32_e32 v24, v2, v0
	v_sub_f32_e32 v25, v4, v3
	;; [unrolled: 1-line block ×3, first 2 shown]
	v_add_f32_e32 v5, v6, v5
	v_add_f32_e32 v6, v9, v7
	v_sub_f32_e32 v3, v3, v1
	v_sub_f32_e32 v2, v18, v2
	;; [unrolled: 1-line block ×3, first 2 shown]
	v_add_f32_e32 v7, v22, v18
	v_add_f32_e32 v9, v23, v1
	v_mul_f32_e32 v8, 0x3f4a47b2, v8
	v_mul_f32_e32 v10, 0x3f4a47b2, v10
	;; [unrolled: 1-line block ×7, first 2 shown]
	v_add_f32_e32 v0, v67, v5
	v_add_f32_e32 v1, v68, v6
	v_mul_f32_e32 v27, 0x3f5ff5aa, v3
	v_fmamk_f32 v11, v11, 0x3d64c772, v8
	v_fmamk_f32 v19, v19, 0x3d64c772, v10
	v_fma_f32 v18, 0x3f3bfb3b, v20, -v18
	v_fma_f32 v22, 0x3f3bfb3b, v21, -v22
	;; [unrolled: 1-line block ×4, first 2 shown]
	v_fmamk_f32 v20, v2, 0x3eae86e6, v23
	v_fmamk_f32 v21, v4, 0x3eae86e6, v24
	v_fma_f32 v24, 0x3f5ff5aa, v3, -v24
	v_fma_f32 v25, 0xbeae86e6, v2, -v25
	v_fmamk_f32 v2, v5, 0xbf955555, v0
	v_fmamk_f32 v3, v6, 0xbf955555, v1
	v_fma_f32 v23, 0x3f5ff5aa, v26, -v23
	v_fma_f32 v26, 0xbeae86e6, v4, -v27
	v_fmac_f32_e32 v20, 0x3ee1c552, v7
	v_fmac_f32_e32 v21, 0x3ee1c552, v9
	global_store_dwordx2 v[12:13], v[0:1], off
	v_add_f32_e32 v11, v11, v2
	v_add_f32_e32 v12, v19, v3
	v_fmac_f32_e32 v24, 0x3ee1c552, v9
	v_fmac_f32_e32 v25, 0x3ee1c552, v7
	;; [unrolled: 1-line block ×3, first 2 shown]
	v_add_f32_e32 v8, v8, v2
	v_add_f32_e32 v9, v10, v3
	v_fmac_f32_e32 v23, 0x3ee1c552, v7
	v_add_f32_e32 v6, v18, v2
	v_add_f32_e32 v7, v22, v3
	;; [unrolled: 1-line block ×3, first 2 shown]
	v_sub_f32_e32 v1, v12, v20
	v_add_f32_e32 v2, v26, v8
	v_sub_f32_e32 v3, v9, v25
	v_sub_f32_e32 v4, v6, v24
	v_add_f32_e32 v5, v23, v7
	v_add_f32_e32 v6, v24, v6
	v_sub_f32_e32 v7, v7, v23
	v_sub_f32_e32 v8, v8, v26
	v_add_f32_e32 v9, v25, v9
	v_sub_f32_e32 v10, v11, v21
	v_add_f32_e32 v11, v20, v12
	global_store_dwordx2 v[14:15], v[0:1], off
	global_store_dwordx2 v[16:17], v[2:3], off
	;; [unrolled: 1-line block ×6, first 2 shown]
.LBB0_20:
	s_endpgm
	.section	.rodata,"a",@progbits
	.p2align	6, 0x0
	.amdhsa_kernel fft_rtc_fwd_len945_factors_3_3_3_5_7_wgs_63_tpt_63_halfLds_sp_ip_CI_sbrr_dirReg
		.amdhsa_group_segment_fixed_size 0
		.amdhsa_private_segment_fixed_size 0
		.amdhsa_kernarg_size 88
		.amdhsa_user_sgpr_count 6
		.amdhsa_user_sgpr_private_segment_buffer 1
		.amdhsa_user_sgpr_dispatch_ptr 0
		.amdhsa_user_sgpr_queue_ptr 0
		.amdhsa_user_sgpr_kernarg_segment_ptr 1
		.amdhsa_user_sgpr_dispatch_id 0
		.amdhsa_user_sgpr_flat_scratch_init 0
		.amdhsa_user_sgpr_private_segment_size 0
		.amdhsa_wavefront_size32 1
		.amdhsa_uses_dynamic_stack 0
		.amdhsa_system_sgpr_private_segment_wavefront_offset 0
		.amdhsa_system_sgpr_workgroup_id_x 1
		.amdhsa_system_sgpr_workgroup_id_y 0
		.amdhsa_system_sgpr_workgroup_id_z 0
		.amdhsa_system_sgpr_workgroup_info 0
		.amdhsa_system_vgpr_workitem_id 0
		.amdhsa_next_free_vgpr 103
		.amdhsa_next_free_sgpr 23
		.amdhsa_reserve_vcc 1
		.amdhsa_reserve_flat_scratch 0
		.amdhsa_float_round_mode_32 0
		.amdhsa_float_round_mode_16_64 0
		.amdhsa_float_denorm_mode_32 3
		.amdhsa_float_denorm_mode_16_64 3
		.amdhsa_dx10_clamp 1
		.amdhsa_ieee_mode 1
		.amdhsa_fp16_overflow 0
		.amdhsa_workgroup_processor_mode 1
		.amdhsa_memory_ordered 1
		.amdhsa_forward_progress 0
		.amdhsa_shared_vgpr_count 0
		.amdhsa_exception_fp_ieee_invalid_op 0
		.amdhsa_exception_fp_denorm_src 0
		.amdhsa_exception_fp_ieee_div_zero 0
		.amdhsa_exception_fp_ieee_overflow 0
		.amdhsa_exception_fp_ieee_underflow 0
		.amdhsa_exception_fp_ieee_inexact 0
		.amdhsa_exception_int_div_zero 0
	.end_amdhsa_kernel
	.text
.Lfunc_end0:
	.size	fft_rtc_fwd_len945_factors_3_3_3_5_7_wgs_63_tpt_63_halfLds_sp_ip_CI_sbrr_dirReg, .Lfunc_end0-fft_rtc_fwd_len945_factors_3_3_3_5_7_wgs_63_tpt_63_halfLds_sp_ip_CI_sbrr_dirReg
                                        ; -- End function
	.section	.AMDGPU.csdata,"",@progbits
; Kernel info:
; codeLenInByte = 10864
; NumSgprs: 25
; NumVgprs: 103
; ScratchSize: 0
; MemoryBound: 0
; FloatMode: 240
; IeeeMode: 1
; LDSByteSize: 0 bytes/workgroup (compile time only)
; SGPRBlocks: 3
; VGPRBlocks: 12
; NumSGPRsForWavesPerEU: 25
; NumVGPRsForWavesPerEU: 103
; Occupancy: 9
; WaveLimiterHint : 1
; COMPUTE_PGM_RSRC2:SCRATCH_EN: 0
; COMPUTE_PGM_RSRC2:USER_SGPR: 6
; COMPUTE_PGM_RSRC2:TRAP_HANDLER: 0
; COMPUTE_PGM_RSRC2:TGID_X_EN: 1
; COMPUTE_PGM_RSRC2:TGID_Y_EN: 0
; COMPUTE_PGM_RSRC2:TGID_Z_EN: 0
; COMPUTE_PGM_RSRC2:TIDIG_COMP_CNT: 0
	.text
	.p2alignl 6, 3214868480
	.fill 48, 4, 3214868480
	.type	__hip_cuid_9b5fff405577b087,@object ; @__hip_cuid_9b5fff405577b087
	.section	.bss,"aw",@nobits
	.globl	__hip_cuid_9b5fff405577b087
__hip_cuid_9b5fff405577b087:
	.byte	0                               ; 0x0
	.size	__hip_cuid_9b5fff405577b087, 1

	.ident	"AMD clang version 19.0.0git (https://github.com/RadeonOpenCompute/llvm-project roc-6.4.0 25133 c7fe45cf4b819c5991fe208aaa96edf142730f1d)"
	.section	".note.GNU-stack","",@progbits
	.addrsig
	.addrsig_sym __hip_cuid_9b5fff405577b087
	.amdgpu_metadata
---
amdhsa.kernels:
  - .args:
      - .actual_access:  read_only
        .address_space:  global
        .offset:         0
        .size:           8
        .value_kind:     global_buffer
      - .offset:         8
        .size:           8
        .value_kind:     by_value
      - .actual_access:  read_only
        .address_space:  global
        .offset:         16
        .size:           8
        .value_kind:     global_buffer
      - .actual_access:  read_only
        .address_space:  global
        .offset:         24
        .size:           8
        .value_kind:     global_buffer
      - .offset:         32
        .size:           8
        .value_kind:     by_value
      - .actual_access:  read_only
        .address_space:  global
        .offset:         40
        .size:           8
        .value_kind:     global_buffer
      - .actual_access:  read_only
        .address_space:  global
        .offset:         48
        .size:           8
        .value_kind:     global_buffer
      - .offset:         56
        .size:           4
        .value_kind:     by_value
      - .actual_access:  read_only
        .address_space:  global
        .offset:         64
        .size:           8
        .value_kind:     global_buffer
      - .actual_access:  read_only
        .address_space:  global
        .offset:         72
        .size:           8
        .value_kind:     global_buffer
      - .address_space:  global
        .offset:         80
        .size:           8
        .value_kind:     global_buffer
    .group_segment_fixed_size: 0
    .kernarg_segment_align: 8
    .kernarg_segment_size: 88
    .language:       OpenCL C
    .language_version:
      - 2
      - 0
    .max_flat_workgroup_size: 63
    .name:           fft_rtc_fwd_len945_factors_3_3_3_5_7_wgs_63_tpt_63_halfLds_sp_ip_CI_sbrr_dirReg
    .private_segment_fixed_size: 0
    .sgpr_count:     25
    .sgpr_spill_count: 0
    .symbol:         fft_rtc_fwd_len945_factors_3_3_3_5_7_wgs_63_tpt_63_halfLds_sp_ip_CI_sbrr_dirReg.kd
    .uniform_work_group_size: 1
    .uses_dynamic_stack: false
    .vgpr_count:     103
    .vgpr_spill_count: 0
    .wavefront_size: 32
    .workgroup_processor_mode: 1
amdhsa.target:   amdgcn-amd-amdhsa--gfx1030
amdhsa.version:
  - 1
  - 2
...

	.end_amdgpu_metadata
